;; amdgpu-corpus repo=ROCm/rocFFT kind=compiled arch=gfx1030 opt=O3
	.text
	.amdgcn_target "amdgcn-amd-amdhsa--gfx1030"
	.amdhsa_code_object_version 6
	.protected	fft_rtc_back_len1870_factors_17_10_11_wgs_187_tpt_187_halfLds_dp_op_CI_CI_unitstride_sbrr_R2C_dirReg ; -- Begin function fft_rtc_back_len1870_factors_17_10_11_wgs_187_tpt_187_halfLds_dp_op_CI_CI_unitstride_sbrr_R2C_dirReg
	.globl	fft_rtc_back_len1870_factors_17_10_11_wgs_187_tpt_187_halfLds_dp_op_CI_CI_unitstride_sbrr_R2C_dirReg
	.p2align	8
	.type	fft_rtc_back_len1870_factors_17_10_11_wgs_187_tpt_187_halfLds_dp_op_CI_CI_unitstride_sbrr_R2C_dirReg,@function
fft_rtc_back_len1870_factors_17_10_11_wgs_187_tpt_187_halfLds_dp_op_CI_CI_unitstride_sbrr_R2C_dirReg: ; @fft_rtc_back_len1870_factors_17_10_11_wgs_187_tpt_187_halfLds_dp_op_CI_CI_unitstride_sbrr_R2C_dirReg
; %bb.0:
	s_clause 0x2
	s_load_dwordx4 s[12:15], s[4:5], 0x0
	s_load_dwordx4 s[8:11], s[4:5], 0x58
	;; [unrolled: 1-line block ×3, first 2 shown]
	v_mul_u32_u24_e32 v1, 0x15f, v0
	v_mov_b32_e32 v3, 0
	s_mov_b64 s[58:59], s[2:3]
	s_mov_b64 s[56:57], s[0:1]
	v_add_nc_u32_sdwa v5, s6, v1 dst_sel:DWORD dst_unused:UNUSED_PAD src0_sel:DWORD src1_sel:WORD_1
	v_mov_b32_e32 v1, 0
	v_mov_b32_e32 v6, v3
	;; [unrolled: 1-line block ×3, first 2 shown]
	s_add_u32 s56, s56, s7
	s_addc_u32 s57, s57, 0
	s_waitcnt lgkmcnt(0)
	v_cmp_lt_u64_e64 s0, s[14:15], 2
	s_and_b32 vcc_lo, exec_lo, s0
	s_cbranch_vccnz .LBB0_8
; %bb.1:
	s_load_dwordx2 s[0:1], s[4:5], 0x10
	v_mov_b32_e32 v1, 0
	v_mov_b32_e32 v2, 0
	s_add_u32 s2, s18, 8
	s_addc_u32 s3, s19, 0
	s_add_u32 s6, s16, 8
	s_addc_u32 s7, s17, 0
	v_mov_b32_e32 v77, v2
	v_mov_b32_e32 v76, v1
	s_mov_b64 s[22:23], 1
	s_waitcnt lgkmcnt(0)
	s_add_u32 s20, s0, 8
	s_addc_u32 s21, s1, 0
.LBB0_2:                                ; =>This Inner Loop Header: Depth=1
	s_load_dwordx2 s[24:25], s[20:21], 0x0
                                        ; implicit-def: $vgpr80_vgpr81
	s_mov_b32 s0, exec_lo
	s_waitcnt lgkmcnt(0)
	v_or_b32_e32 v4, s25, v6
	v_cmpx_ne_u64_e32 0, v[3:4]
	s_xor_b32 s1, exec_lo, s0
	s_cbranch_execz .LBB0_4
; %bb.3:                                ;   in Loop: Header=BB0_2 Depth=1
	v_cvt_f32_u32_e32 v4, s24
	v_cvt_f32_u32_e32 v7, s25
	s_sub_u32 s0, 0, s24
	s_subb_u32 s26, 0, s25
	v_fmac_f32_e32 v4, 0x4f800000, v7
	v_rcp_f32_e32 v4, v4
	v_mul_f32_e32 v4, 0x5f7ffffc, v4
	v_mul_f32_e32 v7, 0x2f800000, v4
	v_trunc_f32_e32 v7, v7
	v_fmac_f32_e32 v4, 0xcf800000, v7
	v_cvt_u32_f32_e32 v7, v7
	v_cvt_u32_f32_e32 v4, v4
	v_mul_lo_u32 v8, s0, v7
	v_mul_hi_u32 v9, s0, v4
	v_mul_lo_u32 v10, s26, v4
	v_add_nc_u32_e32 v8, v9, v8
	v_mul_lo_u32 v9, s0, v4
	v_add_nc_u32_e32 v8, v8, v10
	v_mul_hi_u32 v10, v4, v9
	v_mul_lo_u32 v11, v4, v8
	v_mul_hi_u32 v12, v4, v8
	v_mul_hi_u32 v13, v7, v9
	v_mul_lo_u32 v9, v7, v9
	v_mul_hi_u32 v14, v7, v8
	v_mul_lo_u32 v8, v7, v8
	v_add_co_u32 v10, vcc_lo, v10, v11
	v_add_co_ci_u32_e32 v11, vcc_lo, 0, v12, vcc_lo
	v_add_co_u32 v9, vcc_lo, v10, v9
	v_add_co_ci_u32_e32 v9, vcc_lo, v11, v13, vcc_lo
	v_add_co_ci_u32_e32 v10, vcc_lo, 0, v14, vcc_lo
	v_add_co_u32 v8, vcc_lo, v9, v8
	v_add_co_ci_u32_e32 v9, vcc_lo, 0, v10, vcc_lo
	v_add_co_u32 v4, vcc_lo, v4, v8
	v_add_co_ci_u32_e32 v7, vcc_lo, v7, v9, vcc_lo
	v_mul_hi_u32 v8, s0, v4
	v_mul_lo_u32 v10, s26, v4
	v_mul_lo_u32 v9, s0, v7
	v_add_nc_u32_e32 v8, v8, v9
	v_mul_lo_u32 v9, s0, v4
	v_add_nc_u32_e32 v8, v8, v10
	v_mul_hi_u32 v10, v4, v9
	v_mul_lo_u32 v11, v4, v8
	v_mul_hi_u32 v12, v4, v8
	v_mul_hi_u32 v13, v7, v9
	v_mul_lo_u32 v9, v7, v9
	v_mul_hi_u32 v14, v7, v8
	v_mul_lo_u32 v8, v7, v8
	v_add_co_u32 v10, vcc_lo, v10, v11
	v_add_co_ci_u32_e32 v11, vcc_lo, 0, v12, vcc_lo
	v_add_co_u32 v9, vcc_lo, v10, v9
	v_add_co_ci_u32_e32 v9, vcc_lo, v11, v13, vcc_lo
	v_add_co_ci_u32_e32 v10, vcc_lo, 0, v14, vcc_lo
	v_add_co_u32 v8, vcc_lo, v9, v8
	v_add_co_ci_u32_e32 v9, vcc_lo, 0, v10, vcc_lo
	v_add_co_u32 v4, vcc_lo, v4, v8
	v_add_co_ci_u32_e32 v11, vcc_lo, v7, v9, vcc_lo
	v_mul_hi_u32 v13, v5, v4
	v_mad_u64_u32 v[9:10], null, v6, v4, 0
	v_mad_u64_u32 v[7:8], null, v5, v11, 0
	;; [unrolled: 1-line block ×3, first 2 shown]
	v_add_co_u32 v4, vcc_lo, v13, v7
	v_add_co_ci_u32_e32 v7, vcc_lo, 0, v8, vcc_lo
	v_add_co_u32 v4, vcc_lo, v4, v9
	v_add_co_ci_u32_e32 v4, vcc_lo, v7, v10, vcc_lo
	v_add_co_ci_u32_e32 v7, vcc_lo, 0, v12, vcc_lo
	v_add_co_u32 v4, vcc_lo, v4, v11
	v_add_co_ci_u32_e32 v9, vcc_lo, 0, v7, vcc_lo
	v_mul_lo_u32 v10, s25, v4
	v_mad_u64_u32 v[7:8], null, s24, v4, 0
	v_mul_lo_u32 v11, s24, v9
	v_sub_co_u32 v7, vcc_lo, v5, v7
	v_add3_u32 v8, v8, v11, v10
	v_sub_nc_u32_e32 v10, v6, v8
	v_subrev_co_ci_u32_e64 v10, s0, s25, v10, vcc_lo
	v_add_co_u32 v11, s0, v4, 2
	v_add_co_ci_u32_e64 v12, s0, 0, v9, s0
	v_sub_co_u32 v13, s0, v7, s24
	v_sub_co_ci_u32_e32 v8, vcc_lo, v6, v8, vcc_lo
	v_subrev_co_ci_u32_e64 v10, s0, 0, v10, s0
	v_cmp_le_u32_e32 vcc_lo, s24, v13
	v_cmp_eq_u32_e64 s0, s25, v8
	v_cndmask_b32_e64 v13, 0, -1, vcc_lo
	v_cmp_le_u32_e32 vcc_lo, s25, v10
	v_cndmask_b32_e64 v14, 0, -1, vcc_lo
	v_cmp_le_u32_e32 vcc_lo, s24, v7
	;; [unrolled: 2-line block ×3, first 2 shown]
	v_cndmask_b32_e64 v15, 0, -1, vcc_lo
	v_cmp_eq_u32_e32 vcc_lo, s25, v10
	v_cndmask_b32_e64 v7, v15, v7, s0
	v_cndmask_b32_e32 v10, v14, v13, vcc_lo
	v_add_co_u32 v13, vcc_lo, v4, 1
	v_add_co_ci_u32_e32 v14, vcc_lo, 0, v9, vcc_lo
	v_cmp_ne_u32_e32 vcc_lo, 0, v10
	v_cndmask_b32_e32 v8, v14, v12, vcc_lo
	v_cndmask_b32_e32 v10, v13, v11, vcc_lo
	v_cmp_ne_u32_e32 vcc_lo, 0, v7
	v_cndmask_b32_e32 v81, v9, v8, vcc_lo
	v_cndmask_b32_e32 v80, v4, v10, vcc_lo
.LBB0_4:                                ;   in Loop: Header=BB0_2 Depth=1
	s_andn2_saveexec_b32 s0, s1
	s_cbranch_execz .LBB0_6
; %bb.5:                                ;   in Loop: Header=BB0_2 Depth=1
	v_cvt_f32_u32_e32 v4, s24
	s_sub_i32 s1, 0, s24
	v_mov_b32_e32 v81, v3
	v_rcp_iflag_f32_e32 v4, v4
	v_mul_f32_e32 v4, 0x4f7ffffe, v4
	v_cvt_u32_f32_e32 v4, v4
	v_mul_lo_u32 v7, s1, v4
	v_mul_hi_u32 v7, v4, v7
	v_add_nc_u32_e32 v4, v4, v7
	v_mul_hi_u32 v4, v5, v4
	v_mul_lo_u32 v7, v4, s24
	v_add_nc_u32_e32 v8, 1, v4
	v_sub_nc_u32_e32 v7, v5, v7
	v_subrev_nc_u32_e32 v9, s24, v7
	v_cmp_le_u32_e32 vcc_lo, s24, v7
	v_cndmask_b32_e32 v7, v7, v9, vcc_lo
	v_cndmask_b32_e32 v4, v4, v8, vcc_lo
	v_cmp_le_u32_e32 vcc_lo, s24, v7
	v_add_nc_u32_e32 v8, 1, v4
	v_cndmask_b32_e32 v80, v4, v8, vcc_lo
.LBB0_6:                                ;   in Loop: Header=BB0_2 Depth=1
	s_or_b32 exec_lo, exec_lo, s0
	v_mul_lo_u32 v4, v81, s24
	v_mul_lo_u32 v9, v80, s25
	s_load_dwordx2 s[0:1], s[6:7], 0x0
	v_mad_u64_u32 v[7:8], null, v80, s24, 0
	s_load_dwordx2 s[24:25], s[2:3], 0x0
	s_add_u32 s22, s22, 1
	s_addc_u32 s23, s23, 0
	s_add_u32 s2, s2, 8
	s_addc_u32 s3, s3, 0
	s_add_u32 s6, s6, 8
	v_add3_u32 v4, v8, v9, v4
	v_sub_co_u32 v5, vcc_lo, v5, v7
	s_addc_u32 s7, s7, 0
	s_add_u32 s20, s20, 8
	v_sub_co_ci_u32_e32 v4, vcc_lo, v6, v4, vcc_lo
	s_addc_u32 s21, s21, 0
	s_waitcnt lgkmcnt(0)
	v_mul_lo_u32 v6, s0, v4
	v_mul_lo_u32 v7, s1, v5
	v_mad_u64_u32 v[1:2], null, s0, v5, v[1:2]
	v_mul_lo_u32 v4, s24, v4
	v_mul_lo_u32 v8, s25, v5
	v_mad_u64_u32 v[76:77], null, s24, v5, v[76:77]
	v_cmp_ge_u64_e64 s0, s[22:23], s[14:15]
	v_add3_u32 v2, v7, v2, v6
	v_add3_u32 v77, v8, v77, v4
	s_and_b32 vcc_lo, exec_lo, s0
	s_cbranch_vccnz .LBB0_9
; %bb.7:                                ;   in Loop: Header=BB0_2 Depth=1
	v_mov_b32_e32 v5, v80
	v_mov_b32_e32 v6, v81
	s_branch .LBB0_2
.LBB0_8:
	v_mov_b32_e32 v77, v2
	v_mov_b32_e32 v81, v6
	;; [unrolled: 1-line block ×4, first 2 shown]
.LBB0_9:
	s_load_dwordx2 s[0:1], s[4:5], 0x28
	v_mul_hi_u32 v3, 0x15e75bc, v0
	s_lshl_b64 s[4:5], s[14:15], 3
                                        ; implicit-def: $vgpr78
	s_add_u32 s2, s18, s4
	s_addc_u32 s3, s19, s5
	s_waitcnt lgkmcnt(0)
	v_cmp_gt_u64_e32 vcc_lo, s[0:1], v[80:81]
	v_cmp_le_u64_e64 s0, s[0:1], v[80:81]
	s_and_saveexec_b32 s1, s0
	s_xor_b32 s0, exec_lo, s1
; %bb.10:
	v_mul_u32_u24_e32 v1, 0xbb, v3
                                        ; implicit-def: $vgpr3
	v_sub_nc_u32_e32 v78, v0, v1
                                        ; implicit-def: $vgpr0
                                        ; implicit-def: $vgpr1_vgpr2
; %bb.11:
	s_andn2_saveexec_b32 s1, s0
	s_cbranch_execz .LBB0_13
; %bb.12:
	s_add_u32 s4, s16, s4
	s_addc_u32 s5, s17, s5
	v_lshlrev_b64 v[1:2], 4, v[1:2]
	s_load_dwordx2 s[4:5], s[4:5], 0x0
	s_waitcnt lgkmcnt(0)
	v_mul_lo_u32 v6, s5, v80
	v_mul_lo_u32 v7, s4, v81
	v_mad_u64_u32 v[4:5], null, s4, v80, 0
	v_add3_u32 v5, v5, v7, v6
	v_mul_u32_u24_e32 v6, 0xbb, v3
	v_lshlrev_b64 v[3:4], 4, v[4:5]
	v_sub_nc_u32_e32 v78, v0, v6
	v_lshlrev_b32_e32 v40, 4, v78
	v_add_co_u32 v0, s0, s8, v3
	v_add_co_ci_u32_e64 v3, s0, s9, v4, s0
	v_add_co_u32 v0, s0, v0, v1
	v_add_co_ci_u32_e64 v1, s0, v3, v2, s0
	v_add_co_u32 v0, s0, v0, v40
	v_add_co_ci_u32_e64 v1, s0, 0, v1, s0
	v_add_nc_u32_e32 v40, 0, v40
	v_add_co_u32 v4, s0, 0x800, v0
	v_add_co_ci_u32_e64 v5, s0, 0, v1, s0
	v_add_co_u32 v8, s0, 0x1000, v0
	v_add_co_ci_u32_e64 v9, s0, 0, v1, s0
	;; [unrolled: 2-line block ×9, first 2 shown]
	s_clause 0x9
	global_load_dwordx4 v[0:3], v[0:1], off
	global_load_dwordx4 v[4:7], v[4:5], off offset:944
	global_load_dwordx4 v[8:11], v[8:9], off offset:1888
	;; [unrolled: 1-line block ×9, first 2 shown]
	s_waitcnt vmcnt(9)
	ds_write_b128 v40, v[0:3]
	s_waitcnt vmcnt(8)
	ds_write_b128 v40, v[4:7] offset:2992
	s_waitcnt vmcnt(7)
	ds_write_b128 v40, v[8:11] offset:5984
	;; [unrolled: 2-line block ×9, first 2 shown]
.LBB0_13:
	s_or_b32 exec_lo, exec_lo, s1
	v_lshl_add_u32 v176, v78, 4, 0
	s_waitcnt lgkmcnt(0)
	s_barrier
	buffer_gl0_inv
	s_mov_b32 s4, 0x910ea3b9
	ds_read_b128 v[4:7], v176 offset:28160
	ds_read_b128 v[68:71], v176 offset:1760
	ds_read_b128 v[8:11], v176 offset:26400
	ds_read_b128 v[24:27], v176
	ds_read_b128 v[64:67], v176 offset:3520
	s_mov_b32 s8, 0x4363dd80
	s_mov_b32 s5, 0xbfeb34fa
	s_mov_b32 s9, 0xbfe0d888
	ds_read_b128 v[60:63], v176 offset:5280
	ds_read_b128 v[12:15], v176 offset:24640
	s_mov_b32 s6, 0x2b2883cd
	s_mov_b32 s14, 0x7c9e640b
	s_mov_b32 s7, 0x3fdc86fa
	s_mov_b32 s15, 0x3feca52d
	ds_read_b128 v[16:19], v176 offset:22880
	ds_read_b128 v[52:55], v176 offset:7040
	s_mov_b32 s20, 0x3259b75e
	;; [unrolled: 6-line block ×3, first 2 shown]
	s_waitcnt lgkmcnt(9)
	v_add_f64 v[142:143], v[70:71], -v[6:7]
	v_add_f64 v[124:125], v[70:71], v[6:7]
	v_add_f64 v[128:129], v[68:69], v[4:5]
	v_add_f64 v[144:145], v[68:69], -v[4:5]
	s_waitcnt lgkmcnt(6)
	v_add_f64 v[120:121], v[66:67], -v[10:11]
	v_add_f64 v[86:87], v[66:67], v[10:11]
	v_add_f64 v[96:97], v[64:65], v[8:9]
	v_add_f64 v[140:141], v[64:65], -v[8:9]
	;; [unrolled: 5-line block ×3, first 2 shown]
	s_mov_b32 s40, 0x6c9a05f6
	s_waitcnt lgkmcnt(2)
	v_add_f64 v[116:117], v[54:55], -v[18:19]
	v_add_f64 v[84:85], v[54:55], v[18:19]
	s_mov_b32 s19, 0xbfe348c8
	s_mov_b32 s41, 0x3fe9895b
	v_add_f64 v[94:95], v[52:53], v[16:17]
	v_add_f64 v[138:139], v[52:53], -v[16:17]
	s_waitcnt lgkmcnt(0)
	v_add_f64 v[102:103], v[42:43], -v[22:23]
	v_add_f64 v[88:89], v[42:43], v[22:23]
	ds_read_b128 v[28:31], v176 offset:19360
	ds_read_b128 v[56:59], v176 offset:10560
	v_mul_f64 v[74:75], v[142:143], s[8:9]
	v_mul_f64 v[168:169], v[124:125], s[4:5]
	s_mov_b32 s16, 0x370991
	v_mul_f64 v[72:73], v[120:121], s[14:15]
	v_mul_f64 v[152:153], v[86:87], s[6:7]
	s_mov_b32 s38, 0x5d8e7cdc
	s_mov_b32 s17, 0x3fedd6d0
	v_mul_f64 v[154:155], v[110:111], s[24:25]
	v_mul_f64 v[150:151], v[82:83], s[20:21]
	s_mov_b32 s39, 0xbfd71e95
	v_add_f64 v[98:99], v[40:41], v[20:21]
	v_add_f64 v[126:127], v[40:41], -v[20:21]
	v_mul_f64 v[156:157], v[116:117], s[40:41]
	v_mul_f64 v[148:149], v[84:85], s[18:19]
	s_mov_b32 s22, 0x7faef3
	s_mov_b32 s26, 0xacd6c6b4
	;; [unrolled: 1-line block ×4, first 2 shown]
	v_mul_f64 v[146:147], v[102:103], s[38:39]
	s_waitcnt lgkmcnt(0)
	v_add_f64 v[114:115], v[58:59], -v[30:31]
	v_add_f64 v[92:93], v[58:59], v[30:31]
	v_mul_f64 v[162:163], v[88:89], s[16:17]
	v_fma_f64 v[0:1], v[128:129], s[4:5], -v[74:75]
	v_fma_f64 v[2:3], v[144:145], s[8:9], v[168:169]
	v_add_f64 v[112:113], v[56:57], v[28:29]
	v_fma_f64 v[32:33], v[96:97], s[6:7], -v[72:73]
	v_fma_f64 v[34:35], v[140:141], s[14:15], v[152:153]
	v_add_f64 v[136:137], v[56:57], -v[28:29]
	s_mov_b32 s34, 0x75d4884
	v_fma_f64 v[36:37], v[90:91], s[20:21], -v[154:155]
	v_fma_f64 v[38:39], v[130:131], s[24:25], v[150:151]
	s_mov_b32 s36, 0x2a9d6da3
	s_mov_b32 s35, 0x3fe7a5f6
	;; [unrolled: 1-line block ×3, first 2 shown]
	v_fma_f64 v[104:105], v[94:95], s[18:19], -v[156:157]
	v_fma_f64 v[106:107], v[138:139], s[40:41], v[148:149]
	s_mov_b32 s28, 0xc61f0d01
	s_mov_b32 s30, 0x923c349f
	;; [unrolled: 1-line block ×4, first 2 shown]
	v_fma_f64 v[108:109], v[98:99], s[16:17], -v[146:147]
	v_mul_f64 v[158:159], v[114:115], s[26:27]
	v_mul_f64 v[166:167], v[92:93], s[22:23]
	v_fma_f64 v[134:135], v[126:127], s[38:39], v[162:163]
	v_add_f64 v[0:1], v[24:25], v[0:1]
	v_add_f64 v[2:3], v[26:27], v[2:3]
	s_mov_b32 s33, exec_lo
	v_fma_f64 v[174:175], v[112:113], s[22:23], -v[158:159]
	v_fma_f64 v[177:178], v[136:137], s[26:27], v[166:167]
	v_add_f64 v[0:1], v[32:33], v[0:1]
	v_add_f64 v[2:3], v[34:35], v[2:3]
	ds_read_b128 v[44:47], v176 offset:12320
	ds_read_b128 v[32:35], v176 offset:17600
	s_waitcnt lgkmcnt(0)
	v_add_f64 v[122:123], v[46:47], -v[34:35]
	v_add_f64 v[0:1], v[36:37], v[0:1]
	v_add_f64 v[2:3], v[38:39], v[2:3]
	;; [unrolled: 1-line block ×3, first 2 shown]
	ds_read_b128 v[48:51], v176 offset:14080
	ds_read_b128 v[36:39], v176 offset:15840
	v_add_f64 v[132:133], v[44:45], -v[32:33]
	s_waitcnt lgkmcnt(0)
	s_barrier
	buffer_gl0_inv
	v_mul_f64 v[160:161], v[122:123], s[36:37]
	v_add_f64 v[0:1], v[104:105], v[0:1]
	v_add_f64 v[2:3], v[106:107], v[2:3]
	;; [unrolled: 1-line block ×3, first 2 shown]
	v_add_f64 v[118:119], v[50:51], -v[38:39]
	v_add_f64 v[104:105], v[50:51], v[38:39]
	v_mul_f64 v[170:171], v[100:101], s[34:35]
	v_add_f64 v[0:1], v[108:109], v[0:1]
	v_add_f64 v[2:3], v[134:135], v[2:3]
	v_add_f64 v[108:109], v[48:49], v[36:37]
	v_add_f64 v[134:135], v[48:49], -v[36:37]
	v_mul_f64 v[164:165], v[118:119], s[30:31]
	v_mul_f64 v[172:173], v[104:105], s[28:29]
	v_fma_f64 v[179:180], v[106:107], s[34:35], -v[160:161]
	v_fma_f64 v[181:182], v[132:133], s[36:37], v[170:171]
	v_add_f64 v[0:1], v[174:175], v[0:1]
	v_add_f64 v[2:3], v[177:178], v[2:3]
	v_fma_f64 v[174:175], v[108:109], s[28:29], -v[164:165]
	v_fma_f64 v[177:178], v[134:135], s[30:31], v[172:173]
	v_add_f64 v[0:1], v[179:180], v[0:1]
	v_add_f64 v[2:3], v[181:182], v[2:3]
	;; [unrolled: 1-line block ×4, first 2 shown]
	v_cmpx_gt_u32_e32 0x6e, v78
	s_cbranch_execz .LBB0_15
; %bb.14:
	v_add_f64 v[68:69], v[24:25], v[68:69]
	v_mul_f64 v[207:208], v[144:145], s[8:9]
	v_mul_f64 v[217:218], v[140:141], s[14:15]
	v_add_f64 v[70:71], v[26:27], v[70:71]
	v_mul_f64 v[179:180], v[130:131], s[8:9]
	v_mul_f64 v[215:216], v[130:131], s[24:25]
	;; [unrolled: 1-line block ×6, first 2 shown]
	s_mov_b32 s1, 0x3fd71e95
	s_mov_b32 s0, s38
	;; [unrolled: 1-line block ×3, first 2 shown]
	v_mul_f64 v[195:196], v[140:141], s[0:1]
	v_mul_f64 v[199:200], v[120:121], s[0:1]
	s_mov_b32 s42, s40
	v_mul_f64 v[181:182], v[110:111], s[8:9]
	v_mul_f64 v[229:230], v[128:129], s[4:5]
	;; [unrolled: 1-line block ×3, first 2 shown]
	s_mov_b32 s45, 0x3feec746
	s_mov_b32 s44, s30
	v_mul_f64 v[183:184], v[138:139], s[36:37]
	v_add_f64 v[64:65], v[68:69], v[64:65]
	v_add_f64 v[168:169], v[168:169], -v[207:208]
	v_mul_f64 v[207:208], v[130:131], s[38:39]
	v_add_f64 v[152:153], v[152:153], -v[217:218]
	v_mul_f64 v[217:218], v[130:131], s[36:37]
	buffer_store_dword v130, off, s[56:59], 0 ; 4-byte Folded Spill
	buffer_store_dword v131, off, s[56:59], 0 offset:4 ; 4-byte Folded Spill
	v_add_f64 v[130:131], v[70:71], v[66:67]
	v_add_f64 v[70:71], v[148:149], -v[213:214]
	v_add_f64 v[213:214], v[225:226], v[154:155]
	v_fma_f64 v[197:198], v[124:125], s[22:23], v[174:175]
	v_fma_f64 v[201:202], v[128:129], s[22:23], -v[177:178]
	v_fma_f64 v[174:175], v[124:125], s[22:23], -v[174:175]
	v_fma_f64 v[177:178], v[128:129], s[22:23], v[177:178]
	v_fma_f64 v[235:236], v[86:87], s[16:17], v[195:196]
	v_fma_f64 v[237:238], v[96:97], s[16:17], -v[199:200]
	v_fma_f64 v[195:196], v[86:87], s[16:17], -v[195:196]
	v_mul_f64 v[227:228], v[96:97], s[6:7]
	v_fma_f64 v[199:200], v[96:97], s[16:17], v[199:200]
	v_mul_f64 v[251:252], v[142:143], s[42:43]
	v_fma_f64 v[253:254], v[82:83], s[4:5], v[179:180]
	v_add_f64 v[74:75], v[229:230], v[74:75]
	v_fma_f64 v[179:180], v[82:83], s[4:5], -v[179:180]
	buffer_store_dword v64, off, s[56:59], 0 offset:8 ; 4-byte Folded Spill
	buffer_store_dword v65, off, s[56:59], 0 offset:12 ; 4-byte Folded Spill
	v_add_f64 v[168:169], v[26:27], v[168:169]
	v_mul_f64 v[229:230], v[140:141], s[44:45]
	v_mul_f64 v[185:186], v[116:117], s[36:37]
	;; [unrolled: 1-line block ×3, first 2 shown]
	v_add_f64 v[150:151], v[150:151], -v[215:216]
	v_add_f64 v[154:155], v[130:131], v[62:63]
	s_clause 0x3
	buffer_load_dword v62, off, s[56:59], 0 offset:8
	buffer_load_dword v63, off, s[56:59], 0 offset:12
	buffer_load_dword v130, off, s[56:59], 0
	buffer_load_dword v131, off, s[56:59], 0 offset:4
	v_add_f64 v[197:198], v[26:27], v[197:198]
	v_add_f64 v[201:202], v[24:25], v[201:202]
	;; [unrolled: 1-line block ×4, first 2 shown]
	v_mul_f64 v[215:216], v[102:103], s[42:43]
	v_mul_f64 v[187:188], v[136:137], s[14:15]
	;; [unrolled: 1-line block ×3, first 2 shown]
	v_add_f64 v[72:73], v[227:228], v[72:73]
	v_fma_f64 v[227:228], v[84:85], s[34:35], v[183:184]
	v_fma_f64 v[183:184], v[84:85], s[34:35], -v[183:184]
	v_mul_f64 v[239:240], v[110:111], s[38:39]
	v_add_f64 v[74:75], v[24:25], v[74:75]
	v_mul_f64 v[241:242], v[138:139], s[8:9]
	v_mul_f64 v[189:190], v[114:115], s[14:15]
	v_add_f64 v[152:153], v[152:153], v[168:169]
	v_fma_f64 v[168:169], v[128:129], s[18:19], -v[251:252]
	v_fma_f64 v[66:67], v[86:87], s[28:29], v[229:230]
	v_add_f64 v[162:163], v[162:163], -v[211:212]
	v_fma_f64 v[211:212], v[82:83], s[16:17], v[207:208]
	v_mul_f64 v[203:204], v[134:135], s[30:31]
	v_mul_f64 v[209:210], v[136:137], s[26:27]
	;; [unrolled: 1-line block ×3, first 2 shown]
	v_add_f64 v[197:198], v[235:236], v[197:198]
	v_fma_f64 v[235:236], v[90:91], s[4:5], -v[181:182]
	v_add_f64 v[201:202], v[237:238], v[201:202]
	v_add_f64 v[174:175], v[195:196], v[174:175]
	v_fma_f64 v[237:238], v[124:125], s[18:19], v[245:246]
	v_add_f64 v[177:178], v[199:200], v[177:178]
	v_mul_f64 v[199:200], v[126:127], s[42:43]
	v_fma_f64 v[181:182], v[90:91], s[4:5], v[181:182]
	v_fma_f64 v[245:246], v[124:125], s[18:19], -v[245:246]
	s_mov_b32 s53, 0x3fefdd0d
	s_mov_b32 s52, s24
	v_add_f64 v[72:73], v[72:73], v[74:75]
	s_mov_b32 s47, 0x3fe0d888
	s_mov_b32 s46, s8
	v_add_f64 v[150:151], v[150:151], v[152:153]
	v_add_f64 v[168:169], v[24:25], v[168:169]
	v_mul_f64 v[191:192], v[132:133], s[30:31]
	v_mul_f64 v[233:234], v[98:99], s[16:17]
	;; [unrolled: 1-line block ×4, first 2 shown]
	v_fma_f64 v[251:252], v[128:129], s[18:19], v[251:252]
	v_mul_f64 v[193:194], v[122:123], s[30:31]
	v_add_f64 v[197:198], v[253:254], v[197:198]
	v_fma_f64 v[253:254], v[94:95], s[34:35], -v[185:186]
	v_add_f64 v[201:202], v[235:236], v[201:202]
	v_mul_f64 v[235:236], v[120:121], s[44:45]
	v_add_f64 v[174:175], v[179:180], v[174:175]
	v_add_f64 v[68:69], v[26:27], v[237:238]
	v_fma_f64 v[185:186], v[94:95], s[34:35], v[185:186]
	v_add_f64 v[177:178], v[181:182], v[177:178]
	v_fma_f64 v[74:75], v[88:89], s[18:19], -v[199:200]
	v_fma_f64 v[237:238], v[98:99], s[18:19], -v[215:216]
	v_fma_f64 v[215:216], v[98:99], s[18:19], v[215:216]
	v_add_f64 v[72:73], v[213:214], v[72:73]
	v_fma_f64 v[213:214], v[90:91], s[16:17], -v[239:240]
	v_mul_f64 v[205:206], v[132:133], s[36:37]
	v_add_f64 v[70:71], v[70:71], v[150:151]
	v_add_f64 v[172:173], v[172:173], -v[203:204]
	v_add_f64 v[166:167], v[166:167], -v[209:210]
	v_fma_f64 v[203:204], v[86:87], s[28:29], -v[229:230]
	v_add_f64 v[209:210], v[26:27], v[245:246]
	s_mov_b32 s49, 0xbfe58eea
	s_mov_b32 s48, s36
	v_mul_f64 v[223:224], v[112:113], s[22:23]
	v_add_f64 v[197:198], v[227:228], v[197:198]
	v_fma_f64 v[227:228], v[88:89], s[18:19], v[199:200]
	v_add_f64 v[201:202], v[253:254], v[201:202]
	v_fma_f64 v[199:200], v[96:97], s[28:29], -v[235:236]
	v_add_f64 v[152:153], v[183:184], v[174:175]
	v_add_f64 v[66:67], v[66:67], v[68:69]
	;; [unrolled: 1-line block ×4, first 2 shown]
	v_fma_f64 v[185:186], v[92:93], s[6:7], v[187:188]
	v_fma_f64 v[187:188], v[92:93], s[6:7], -v[187:188]
	v_mul_f64 v[183:184], v[140:141], s[46:47]
	v_mul_f64 v[195:196], v[142:143], s[30:31]
	;; [unrolled: 1-line block ×5, first 2 shown]
	v_fma_f64 v[150:151], v[100:101], s[28:29], v[191:192]
	v_add_f64 v[146:147], v[233:234], v[146:147]
	v_fma_f64 v[229:230], v[96:97], s[28:29], v[235:236]
	v_add_f64 v[233:234], v[24:25], v[251:252]
	v_add_f64 v[70:71], v[162:163], v[70:71]
	v_mul_f64 v[64:65], v[118:119], s[52:53]
	v_add_f64 v[162:163], v[170:171], -v[205:206]
	v_fma_f64 v[170:171], v[106:107], s[28:29], v[193:194]
	v_add_f64 v[197:198], v[227:228], v[197:198]
	v_fma_f64 v[227:228], v[112:113], s[6:7], -v[189:190]
	v_add_f64 v[168:169], v[199:200], v[168:169]
	v_add_f64 v[74:75], v[74:75], v[152:153]
	v_fma_f64 v[199:200], v[84:85], s[4:5], v[241:242]
	v_add_f64 v[66:67], v[211:212], v[66:67]
	v_add_f64 v[201:202], v[237:238], v[201:202]
	v_fma_f64 v[211:212], v[124:125], s[28:29], v[249:250]
	v_fma_f64 v[189:190], v[112:113], s[6:7], v[189:190]
	v_add_f64 v[177:178], v[215:216], v[177:178]
	v_add_f64 v[68:69], v[68:69], v[72:73]
	v_fma_f64 v[72:73], v[100:101], s[28:29], -v[191:192]
	v_fma_f64 v[191:192], v[94:95], s[4:5], -v[243:244]
	;; [unrolled: 1-line block ×4, first 2 shown]
	v_add_f64 v[203:204], v[203:204], v[209:210]
	v_fma_f64 v[205:206], v[86:87], s[4:5], v[183:184]
	s_mov_b32 s51, 0xbfeca52d
	s_mov_b32 s50, s14
	v_mul_f64 v[221:222], v[106:107], s[34:35]
	v_mul_f64 v[174:175], v[114:115], s[48:49]
	v_mul_f64 v[253:254], v[120:121], s[46:47]
	v_add_f64 v[185:186], v[185:186], v[197:198]
	v_add_f64 v[158:159], v[223:224], v[158:159]
	;; [unrolled: 1-line block ×4, first 2 shown]
	v_fma_f64 v[187:188], v[88:89], s[20:21], v[148:149]
	v_add_f64 v[66:67], v[199:200], v[66:67]
	v_add_f64 v[197:198], v[227:228], v[201:202]
	;; [unrolled: 1-line block ×3, first 2 shown]
	v_fma_f64 v[199:200], v[90:91], s[16:17], v[239:240]
	v_fma_f64 v[201:202], v[104:105], s[20:21], v[179:180]
	v_add_f64 v[211:212], v[229:230], v[233:234]
	v_add_f64 v[177:178], v[189:190], v[177:178]
	;; [unrolled: 1-line block ×3, first 2 shown]
	v_fma_f64 v[146:147], v[104:105], s[20:21], -v[179:180]
	v_fma_f64 v[179:180], v[98:99], s[20:21], -v[181:182]
	v_add_f64 v[70:71], v[166:167], v[70:71]
	v_fma_f64 v[166:167], v[92:93], s[34:35], v[225:226]
	v_fma_f64 v[189:190], v[124:125], s[28:29], -v[249:250]
	v_mul_f64 v[247:248], v[132:133], s[26:27]
	v_mul_f64 v[231:232], v[138:139], s[50:51]
	v_fma_f64 v[209:210], v[108:109], s[20:21], -v[64:65]
	v_add_f64 v[193:194], v[193:194], v[203:204]
	v_add_f64 v[150:151], v[150:151], v[185:186]
	;; [unrolled: 1-line block ×5, first 2 shown]
	v_fma_f64 v[74:75], v[128:129], s[28:29], -v[195:196]
	v_add_f64 v[185:186], v[187:188], v[66:67]
	v_add_f64 v[152:153], v[152:153], v[197:198]
	v_fma_f64 v[187:188], v[84:85], s[4:5], -v[241:242]
	v_fma_f64 v[197:198], v[82:83], s[34:35], v[217:218]
	v_add_f64 v[203:204], v[205:206], v[207:208]
	v_fma_f64 v[191:192], v[94:95], s[4:5], v[243:244]
	v_add_f64 v[199:200], v[199:200], v[211:212]
	v_add_f64 v[170:171], v[170:171], v[177:178]
	v_fma_f64 v[183:184], v[86:87], s[4:5], -v[183:184]
	v_mul_f64 v[219:220], v[108:109], s[28:29]
	v_add_f64 v[162:163], v[162:163], v[70:71]
	v_fma_f64 v[205:206], v[108:109], s[20:21], v[64:65]
	v_fma_f64 v[181:182], v[98:99], s[20:21], v[181:182]
	v_add_f64 v[54:55], v[154:155], v[54:55]
	v_mul_f64 v[156:157], v[102:103], s[26:27]
	v_add_f64 v[66:67], v[201:202], v[150:151]
	v_add_f64 v[150:151], v[158:159], v[68:69]
	v_fma_f64 v[158:159], v[112:113], s[34:35], -v[174:175]
	v_add_f64 v[168:169], v[179:180], v[168:169]
	v_add_f64 v[70:71], v[146:147], v[72:73]
	v_fma_f64 v[72:73], v[96:97], s[4:5], -v[253:254]
	v_add_f64 v[177:178], v[24:25], v[74:75]
	v_mul_f64 v[179:180], v[110:111], s[36:37]
	v_add_f64 v[166:167], v[166:167], v[185:186]
	v_add_f64 v[185:186], v[26:27], v[189:190]
	;; [unrolled: 1-line block ×3, first 2 shown]
	v_mul_f64 v[152:153], v[122:123], s[26:27]
	v_fma_f64 v[201:202], v[100:101], s[22:23], v[247:248]
	v_mul_f64 v[146:147], v[134:135], s[14:15]
	v_add_f64 v[187:188], v[187:188], v[193:194]
	v_fma_f64 v[189:190], v[88:89], s[20:21], -v[148:149]
	v_add_f64 v[193:194], v[197:198], v[203:204]
	v_fma_f64 v[197:198], v[84:85], s[6:7], v[231:232]
	v_mul_f64 v[203:204], v[126:127], s[26:27]
	v_add_f64 v[191:192], v[191:192], v[199:200]
	v_add_f64 v[74:75], v[172:173], v[162:163]
	v_add_f64 v[164:165], v[219:220], v[164:165]
	v_add_f64 v[68:69], v[205:206], v[170:171]
	v_add_f64 v[150:151], v[160:161], v[150:151]
	v_fma_f64 v[160:161], v[128:129], s[28:29], v[195:196]
	v_add_f64 v[158:159], v[158:159], v[168:169]
	v_mul_f64 v[195:196], v[142:143], s[24:25]
	v_mul_f64 v[162:163], v[144:145], s[24:25]
	v_add_f64 v[168:169], v[72:73], v[177:178]
	v_fma_f64 v[172:173], v[90:91], s[34:35], -v[179:180]
	v_mul_f64 v[177:178], v[116:117], s[50:51]
	v_add_f64 v[183:184], v[183:184], v[185:186]
	v_fma_f64 v[185:186], v[82:83], s[34:35], -v[217:218]
	v_fma_f64 v[170:171], v[106:107], s[22:23], -v[152:153]
	v_mul_f64 v[148:149], v[118:119], s[14:15]
	v_add_f64 v[166:167], v[201:202], v[166:167]
	v_fma_f64 v[199:200], v[104:105], s[6:7], v[146:147]
	v_add_f64 v[187:188], v[189:190], v[187:188]
	v_fma_f64 v[189:190], v[92:93], s[34:35], -v[225:226]
	v_add_f64 v[193:194], v[197:198], v[193:194]
	v_fma_f64 v[197:198], v[88:89], s[22:23], v[203:204]
	v_mul_f64 v[201:202], v[136:137], s[52:53]
	v_add_f64 v[181:182], v[181:182], v[191:192]
	v_fma_f64 v[174:175], v[112:113], s[34:35], v[174:175]
	v_mul_f64 v[205:206], v[120:121], s[26:27]
	v_fma_f64 v[191:192], v[96:97], s[4:5], v[253:254]
	v_add_f64 v[160:161], v[24:25], v[160:161]
	v_add_f64 v[72:73], v[164:165], v[150:151]
	v_fma_f64 v[207:208], v[128:129], s[20:21], -v[195:196]
	v_fma_f64 v[164:165], v[124:125], s[20:21], v[162:163]
	v_fma_f64 v[162:163], v[124:125], s[20:21], -v[162:163]
	v_add_f64 v[168:169], v[172:173], v[168:169]
	v_fma_f64 v[172:173], v[94:95], s[6:7], -v[177:178]
	v_fma_f64 v[152:153], v[106:107], s[22:23], v[152:153]
	v_add_f64 v[183:184], v[185:186], v[183:184]
	v_fma_f64 v[185:186], v[84:85], s[6:7], -v[231:232]
	v_add_f64 v[150:151], v[170:171], v[158:159]
	v_mul_f64 v[158:159], v[140:141], s[26:27]
	v_fma_f64 v[170:171], v[108:109], s[6:7], -v[148:149]
	v_fma_f64 v[179:180], v[90:91], s[34:35], v[179:180]
	v_add_f64 v[42:43], v[54:55], v[42:43]
	v_fma_f64 v[54:55], v[128:129], s[20:21], v[195:196]
	v_fma_f64 v[177:178], v[94:95], s[6:7], v[177:178]
	v_mul_f64 v[195:196], v[140:141], s[42:43]
	v_fma_f64 v[146:147], v[104:105], s[6:7], -v[146:147]
	v_add_f64 v[174:175], v[174:175], v[181:182]
	v_fma_f64 v[181:182], v[100:101], s[22:23], -v[247:248]
	v_add_f64 v[160:161], v[191:192], v[160:161]
	v_add_f64 v[164:165], v[26:27], v[164:165]
	;; [unrolled: 1-line block ×4, first 2 shown]
	v_fma_f64 v[168:169], v[96:97], s[22:23], -v[205:206]
	v_add_f64 v[172:173], v[24:25], v[207:208]
	v_add_f64 v[183:184], v[185:186], v[183:184]
	v_fma_f64 v[185:186], v[88:89], s[22:23], -v[203:204]
	v_fma_f64 v[191:192], v[86:87], s[22:23], v[158:159]
	v_fma_f64 v[158:159], v[86:87], s[22:23], -v[158:159]
	v_fma_f64 v[207:208], v[98:99], s[22:23], -v[156:157]
	v_add_f64 v[42:43], v[42:43], v[58:59]
	v_add_f64 v[54:55], v[24:25], v[54:55]
	v_fma_f64 v[156:157], v[98:99], s[22:23], v[156:157]
	v_add_f64 v[160:161], v[179:180], v[160:161]
	v_add_f64 v[168:169], v[168:169], v[172:173]
	;; [unrolled: 1-line block ×3, first 2 shown]
	v_mul_f64 v[185:186], v[142:143], s[50:51]
	v_add_f64 v[164:165], v[191:192], v[164:165]
	v_add_f64 v[158:159], v[158:159], v[162:163]
	v_fma_f64 v[162:163], v[92:93], s[20:21], -v[201:202]
	v_add_f64 v[154:155], v[207:208], v[154:155]
	v_add_f64 v[42:43], v[42:43], v[46:47]
	;; [unrolled: 1-line block ×3, first 2 shown]
	v_mul_f64 v[177:178], v[126:127], s[50:51]
	v_fma_f64 v[203:204], v[128:129], s[6:7], -v[185:186]
	v_fma_f64 v[185:186], v[128:129], s[6:7], v[185:186]
	v_add_f64 v[162:163], v[162:163], v[183:184]
	v_add_f64 v[42:43], v[42:43], v[50:51]
	;; [unrolled: 1-line block ×3, first 2 shown]
	v_fma_f64 v[183:184], v[88:89], s[6:7], v[177:178]
	v_mul_f64 v[160:161], v[114:115], s[8:9]
	v_add_f64 v[38:39], v[42:43], v[38:39]
	s_waitcnt vmcnt(2)
	v_add_f64 v[60:61], v[62:63], v[60:61]
	v_add_f64 v[62:63], v[199:200], v[166:167]
	;; [unrolled: 1-line block ×4, first 2 shown]
	v_fma_f64 v[189:190], v[92:93], s[20:21], v[201:202]
	v_mul_f64 v[193:194], v[132:133], s[38:39]
	v_mul_f64 v[199:200], v[110:111], s[44:45]
	s_waitcnt vmcnt(0)
	v_mul_f64 v[197:198], v[130:131], s[44:45]
	v_fma_f64 v[201:202], v[96:97], s[22:23], v[205:206]
	v_fma_f64 v[205:206], v[86:87], s[18:19], v[195:196]
	v_fma_f64 v[195:196], v[86:87], s[18:19], -v[195:196]
	v_add_f64 v[34:35], v[38:39], v[34:35]
	v_add_f64 v[209:210], v[60:61], v[52:53]
	;; [unrolled: 1-line block ×6, first 2 shown]
	v_fma_f64 v[187:188], v[100:101], s[16:17], v[193:194]
	v_mul_f64 v[189:190], v[144:145], s[50:51]
	v_fma_f64 v[172:173], v[90:91], s[28:29], -v[199:200]
	v_mul_f64 v[174:175], v[116:117], s[0:1]
	v_mul_f64 v[150:151], v[114:115], s[52:53]
	v_fma_f64 v[179:180], v[82:83], s[28:29], v[197:198]
	v_mul_f64 v[152:153], v[138:139], s[0:1]
	s_mov_b32 s53, 0x3fc7851a
	s_mov_b32 s52, s26
	v_fma_f64 v[197:198], v[82:83], s[28:29], -v[197:198]
	v_mul_f64 v[207:208], v[130:131], s[52:53]
	v_add_f64 v[54:55], v[201:202], v[54:55]
	v_add_f64 v[30:31], v[34:35], v[30:31]
	v_add_f64 v[181:182], v[209:210], v[40:41]
	v_add_f64 v[40:41], v[187:188], v[170:171]
	v_fma_f64 v[170:171], v[124:125], s[6:7], v[189:190]
	v_add_f64 v[58:59], v[172:173], v[168:169]
	v_fma_f64 v[172:173], v[94:95], s[16:17], -v[174:175]
	v_fma_f64 v[191:192], v[112:113], s[20:21], -v[150:151]
	v_mul_f64 v[187:188], v[122:123], s[38:39]
	v_add_f64 v[164:165], v[179:180], v[164:165]
	v_fma_f64 v[179:180], v[84:85], s[16:17], v[152:153]
	v_mul_f64 v[168:169], v[102:103], s[50:51]
	v_fma_f64 v[189:190], v[124:125], s[6:7], -v[189:190]
	v_add_f64 v[158:159], v[197:198], v[158:159]
	v_fma_f64 v[152:153], v[84:85], s[16:17], -v[152:153]
	v_fma_f64 v[197:198], v[90:91], s[28:29], v[199:200]
	v_mul_f64 v[199:200], v[110:111], s[52:53]
	v_fma_f64 v[201:202], v[82:83], s[22:23], v[207:208]
	v_fma_f64 v[150:151], v[112:113], s[20:21], v[150:151]
	;; [unrolled: 1-line block ×3, first 2 shown]
	v_add_f64 v[56:57], v[181:182], v[56:57]
	v_mul_f64 v[181:182], v[120:121], s[42:43]
	v_add_f64 v[22:23], v[30:31], v[22:23]
	v_add_f64 v[170:171], v[26:27], v[170:171]
	;; [unrolled: 1-line block ×5, first 2 shown]
	v_fma_f64 v[191:192], v[106:107], s[16:17], -v[187:188]
	v_add_f64 v[164:165], v[179:180], v[164:165]
	v_mul_f64 v[179:180], v[136:137], s[8:9]
	v_fma_f64 v[46:47], v[98:99], s[6:7], -v[168:169]
	v_mul_f64 v[203:204], v[138:139], s[44:45]
	v_add_f64 v[189:190], v[26:27], v[189:190]
	v_add_f64 v[152:153], v[152:153], v[158:159]
	v_fma_f64 v[158:159], v[88:89], s[6:7], -v[177:178]
	v_fma_f64 v[177:178], v[100:101], s[16:17], -v[193:194]
	v_add_f64 v[54:55], v[197:198], v[54:55]
	v_fma_f64 v[50:51], v[90:91], s[22:23], -v[199:200]
	v_add_f64 v[44:45], v[56:57], v[44:45]
	v_fma_f64 v[56:57], v[96:97], s[18:19], -v[181:182]
	v_mul_f64 v[193:194], v[126:127], s[36:37]
	v_add_f64 v[150:151], v[150:151], v[156:157]
	v_fma_f64 v[156:157], v[98:99], s[6:7], v[168:169]
	v_fma_f64 v[168:169], v[106:107], s[16:17], v[187:188]
	v_add_f64 v[170:171], v[205:206], v[170:171]
	v_add_f64 v[18:19], v[22:23], v[18:19]
	;; [unrolled: 1-line block ×4, first 2 shown]
	v_fma_f64 v[183:184], v[92:93], s[4:5], v[179:180]
	v_add_f64 v[46:47], v[46:47], v[58:59]
	v_fma_f64 v[58:59], v[112:113], s[4:5], -v[160:161]
	v_fma_f64 v[191:192], v[84:85], s[28:29], v[203:204]
	v_add_f64 v[189:190], v[195:196], v[189:190]
	v_fma_f64 v[195:196], v[82:83], s[22:23], -v[207:208]
	v_add_f64 v[152:153], v[158:159], v[152:153]
	v_fma_f64 v[158:159], v[92:93], s[4:5], -v[179:180]
	v_fma_f64 v[179:180], v[96:97], s[18:19], v[181:182]
	v_add_f64 v[44:45], v[44:45], v[48:49]
	v_add_f64 v[48:49], v[56:57], v[172:173]
	v_mul_f64 v[56:57], v[116:117], s[44:45]
	v_mul_f64 v[172:173], v[132:133], s[40:41]
	v_add_f64 v[181:182], v[24:25], v[185:186]
	v_add_f64 v[162:163], v[177:178], v[162:163]
	;; [unrolled: 1-line block ×3, first 2 shown]
	v_mul_f64 v[177:178], v[122:123], s[40:41]
	v_add_f64 v[54:55], v[174:175], v[54:55]
	v_mul_f64 v[174:175], v[136:137], s[38:39]
	v_fma_f64 v[185:186], v[84:85], s[28:29], -v[203:204]
	v_add_f64 v[150:151], v[168:169], v[150:151]
	v_mul_f64 v[168:169], v[114:115], s[38:39]
	v_add_f64 v[164:165], v[183:184], v[164:165]
	v_add_f64 v[14:15], v[18:19], v[14:15]
	;; [unrolled: 1-line block ×4, first 2 shown]
	v_mul_f64 v[189:190], v[142:143], s[48:49]
	v_add_f64 v[152:153], v[158:159], v[152:153]
	v_add_f64 v[36:37], v[44:45], v[36:37]
	;; [unrolled: 1-line block ×3, first 2 shown]
	v_fma_f64 v[44:45], v[94:95], s[28:29], -v[56:57]
	v_mul_f64 v[48:49], v[102:103], s[36:37]
	v_mul_f64 v[50:51], v[144:145], s[48:49]
	v_fma_f64 v[187:188], v[100:101], s[18:19], v[172:173]
	v_add_f64 v[58:59], v[191:192], v[170:171]
	v_fma_f64 v[170:171], v[88:89], s[34:35], v[193:194]
	v_add_f64 v[158:159], v[179:180], v[181:182]
	v_fma_f64 v[181:182], v[106:107], s[18:19], -v[177:178]
	v_fma_f64 v[172:173], v[100:101], s[18:19], -v[172:173]
	v_add_f64 v[54:55], v[156:157], v[54:55]
	v_fma_f64 v[156:157], v[112:113], s[4:5], v[160:161]
	v_fma_f64 v[160:161], v[92:93], s[16:17], v[174:175]
	;; [unrolled: 1-line block ×3, first 2 shown]
	v_fma_f64 v[174:175], v[92:93], s[16:17], -v[174:175]
	v_fma_f64 v[56:57], v[94:95], s[28:29], v[56:57]
	v_add_f64 v[10:11], v[14:15], v[10:11]
	v_add_f64 v[32:33], v[36:37], v[32:33]
	v_mul_f64 v[36:37], v[144:145], s[38:39]
	v_add_f64 v[38:39], v[44:45], v[42:43]
	v_mul_f64 v[42:43], v[142:143], s[38:39]
	v_fma_f64 v[44:45], v[98:99], s[34:35], -v[48:49]
	v_mul_f64 v[142:143], v[140:141], s[24:25]
	v_fma_f64 v[144:145], v[124:125], s[34:35], v[50:51]
	v_add_f64 v[58:59], v[170:171], v[58:59]
	v_add_f64 v[170:171], v[185:186], v[183:184]
	v_fma_f64 v[183:184], v[88:89], s[34:35], -v[193:194]
	v_fma_f64 v[50:51], v[124:125], s[34:35], -v[50:51]
	v_add_f64 v[46:47], v[181:182], v[46:47]
	v_fma_f64 v[181:182], v[128:129], s[34:35], -v[189:190]
	v_add_f64 v[152:153], v[172:173], v[152:153]
	v_add_f64 v[54:55], v[156:157], v[54:55]
	v_mul_f64 v[156:157], v[130:131], s[42:43]
	v_fma_f64 v[172:173], v[128:129], s[34:35], v[189:190]
	v_mul_f64 v[140:141], v[140:141], s[48:49]
	v_add_f64 v[158:159], v[179:180], v[158:159]
	v_mul_f64 v[179:180], v[134:135], s[42:43]
	v_mul_f64 v[130:131], v[130:131], s[50:51]
	v_fma_f64 v[48:49], v[98:99], s[34:35], v[48:49]
	v_add_f64 v[32:33], v[32:33], v[28:29]
	v_fma_f64 v[185:186], v[124:125], s[16:17], -v[36:37]
	v_fma_f64 v[36:37], v[124:125], s[16:17], v[36:37]
	v_fma_f64 v[124:125], v[128:129], s[16:17], -v[42:43]
	v_fma_f64 v[42:43], v[128:129], s[16:17], v[42:43]
	v_add_f64 v[38:39], v[44:45], v[38:39]
	v_fma_f64 v[44:45], v[86:87], s[20:21], v[142:143]
	v_add_f64 v[128:129], v[26:27], v[144:145]
	v_add_f64 v[58:59], v[160:161], v[58:59]
	v_mul_f64 v[160:161], v[120:121], s[24:25]
	v_add_f64 v[170:171], v[183:184], v[170:171]
	v_mul_f64 v[120:121], v[120:121], s[48:49]
	v_fma_f64 v[142:143], v[86:87], s[20:21], -v[142:143]
	v_add_f64 v[50:51], v[26:27], v[50:51]
	v_fma_f64 v[144:145], v[112:113], s[16:17], -v[168:169]
	v_add_f64 v[181:182], v[24:25], v[181:182]
	v_add_f64 v[172:173], v[24:25], v[172:173]
	v_fma_f64 v[34:35], v[86:87], s[34:35], -v[140:141]
	v_fma_f64 v[86:87], v[86:87], s[34:35], v[140:141]
	v_add_f64 v[56:57], v[56:57], v[158:159]
	v_mul_f64 v[140:141], v[132:133], s[24:25]
	v_fma_f64 v[168:169], v[112:113], s[16:17], v[168:169]
	v_add_f64 v[20:21], v[32:33], v[20:21]
	v_add_f64 v[183:184], v[26:27], v[185:186]
	;; [unrolled: 1-line block ×6, first 2 shown]
	v_fma_f64 v[124:125], v[104:105], s[18:19], -v[179:180]
	v_add_f64 v[44:45], v[44:45], v[128:129]
	v_fma_f64 v[128:129], v[82:83], s[18:19], v[156:157]
	v_fma_f64 v[156:157], v[82:83], s[18:19], -v[156:157]
	v_add_f64 v[170:171], v[174:175], v[170:171]
	v_mul_f64 v[174:175], v[110:111], s[42:43]
	v_mul_f64 v[110:111], v[110:111], s[50:51]
	v_fma_f64 v[166:167], v[96:97], s[34:35], v[120:121]
	v_add_f64 v[50:51], v[142:143], v[50:51]
	v_add_f64 v[38:39], v[144:145], v[38:39]
	v_fma_f64 v[144:145], v[96:97], s[20:21], -v[160:161]
	v_fma_f64 v[160:161], v[96:97], s[20:21], v[160:161]
	v_fma_f64 v[96:97], v[96:97], s[34:35], -v[120:121]
	v_fma_f64 v[146:147], v[108:109], s[6:7], v[148:149]
	v_fma_f64 v[148:149], v[104:105], s[18:19], v[179:180]
	v_fma_f64 v[179:180], v[82:83], s[6:7], -v[130:131]
	v_fma_f64 v[82:83], v[82:83], s[6:7], v[130:131]
	v_add_f64 v[34:35], v[34:35], v[183:184]
	v_add_f64 v[26:27], v[86:87], v[26:27]
	v_mul_f64 v[130:131], v[126:127], s[46:47]
	v_mul_f64 v[126:127], v[126:127], s[30:31]
	v_add_f64 v[16:17], v[20:21], v[16:17]
	v_add_f64 v[28:29], v[124:125], v[162:163]
	;; [unrolled: 1-line block ×4, first 2 shown]
	v_mul_f64 v[128:129], v[138:139], s[26:27]
	v_mul_f64 v[138:139], v[138:139], s[24:25]
	v_fma_f64 v[162:163], v[90:91], s[18:19], -v[174:175]
	v_fma_f64 v[174:175], v[90:91], s[18:19], v[174:175]
	v_add_f64 v[42:43], v[166:167], v[42:43]
	v_fma_f64 v[166:167], v[90:91], s[6:7], v[110:111]
	v_add_f64 v[50:51], v[156:157], v[50:51]
	v_mul_f64 v[156:157], v[116:117], s[24:25]
	v_add_f64 v[160:161], v[160:161], v[172:173]
	v_mul_f64 v[116:117], v[116:117], s[26:27]
	v_add_f64 v[144:145], v[144:145], v[181:182]
	v_fma_f64 v[90:91], v[90:91], s[6:7], -v[110:111]
	v_add_f64 v[36:37], v[96:97], v[36:37]
	v_mul_f64 v[96:97], v[102:103], s[46:47]
	v_add_f64 v[34:35], v[179:180], v[34:35]
	v_mul_f64 v[102:103], v[102:103], s[30:31]
	;; [unrolled: 2-line block ×3, first 2 shown]
	v_mul_f64 v[114:115], v[114:115], s[42:43]
	v_fma_f64 v[32:33], v[106:107], s[18:19], v[177:178]
	v_mul_f64 v[177:178], v[122:123], s[24:25]
	v_add_f64 v[12:13], v[16:17], v[12:13]
	v_fma_f64 v[30:31], v[84:85], s[22:23], -v[128:129]
	v_fma_f64 v[179:180], v[84:85], s[20:21], -v[138:139]
	v_fma_f64 v[128:129], v[84:85], s[22:23], v[128:129]
	v_fma_f64 v[84:85], v[84:85], s[20:21], v[138:139]
	v_fma_f64 v[138:139], v[88:89], s[4:5], -v[130:131]
	v_add_f64 v[42:43], v[166:167], v[42:43]
	v_fma_f64 v[130:131], v[88:89], s[4:5], v[130:131]
	v_fma_f64 v[166:167], v[94:95], s[20:21], v[156:157]
	v_add_f64 v[160:161], v[174:175], v[160:161]
	v_fma_f64 v[174:175], v[94:95], s[22:23], v[116:117]
	v_add_f64 v[144:145], v[162:163], v[144:145]
	v_fma_f64 v[116:117], v[94:95], s[22:23], -v[116:117]
	v_fma_f64 v[94:95], v[94:95], s[20:21], -v[156:157]
	v_add_f64 v[36:37], v[90:91], v[36:37]
	v_mul_f64 v[90:91], v[136:137], s[42:43]
	v_mul_f64 v[86:87], v[134:135], s[8:9]
	v_fma_f64 v[162:163], v[100:101], s[20:21], v[140:141]
	v_mul_f64 v[110:111], v[118:119], s[8:9]
	v_fma_f64 v[140:141], v[100:101], s[20:21], -v[140:141]
	v_mul_f64 v[185:186], v[134:135], s[36:37]
	v_fma_f64 v[156:157], v[106:107], s[20:21], -v[177:178]
	v_fma_f64 v[177:178], v[106:107], s[20:21], v[177:178]
	v_add_f64 v[30:31], v[30:31], v[50:51]
	v_mul_f64 v[50:51], v[136:137], s[44:45]
	v_fma_f64 v[136:137], v[88:89], s[28:29], -v[126:127]
	v_add_f64 v[34:35], v[179:180], v[34:35]
	v_fma_f64 v[179:180], v[98:99], s[4:5], v[96:97]
	v_add_f64 v[44:45], v[128:129], v[44:45]
	v_fma_f64 v[96:97], v[98:99], s[4:5], -v[96:97]
	v_add_f64 v[42:43], v[166:167], v[42:43]
	v_fma_f64 v[166:167], v[98:99], s[28:29], v[102:103]
	v_add_f64 v[160:161], v[174:175], v[160:161]
	v_fma_f64 v[88:89], v[88:89], s[28:29], v[126:127]
	v_add_f64 v[116:117], v[116:117], v[144:145]
	v_add_f64 v[26:27], v[84:85], v[26:27]
	v_fma_f64 v[84:85], v[98:99], s[28:29], -v[102:103]
	v_add_f64 v[36:37], v[94:95], v[36:37]
	v_mul_f64 v[174:175], v[132:133], s[14:15]
	v_mul_f64 v[132:133], v[132:133], s[8:9]
	;; [unrolled: 1-line block ×3, first 2 shown]
	v_fma_f64 v[98:99], v[92:93], s[18:19], -v[90:91]
	v_fma_f64 v[102:103], v[112:113], s[18:19], v[114:115]
	v_mul_f64 v[128:129], v[122:123], s[14:15]
	v_fma_f64 v[90:91], v[92:93], s[18:19], v[90:91]
	v_add_f64 v[30:31], v[138:139], v[30:31]
	v_fma_f64 v[144:145], v[92:93], s[28:29], -v[50:51]
	v_fma_f64 v[138:139], v[112:113], s[28:29], v[82:83]
	v_add_f64 v[34:35], v[136:137], v[34:35]
	v_fma_f64 v[50:51], v[92:93], s[28:29], v[50:51]
	v_add_f64 v[44:45], v[130:131], v[44:45]
	v_fma_f64 v[82:83], v[112:113], s[28:29], -v[82:83]
	v_mul_f64 v[130:131], v[134:135], s[26:27]
	v_add_f64 v[20:21], v[166:167], v[42:43]
	v_add_f64 v[22:23], v[179:180], v[160:161]
	v_mul_f64 v[42:43], v[134:135], s[0:1]
	v_add_f64 v[96:97], v[96:97], v[116:117]
	v_add_f64 v[26:27], v[88:89], v[26:27]
	v_fma_f64 v[88:89], v[112:113], s[18:19], -v[114:115]
	v_add_f64 v[36:37], v[84:85], v[36:37]
	v_fma_f64 v[116:117], v[100:101], s[6:7], -v[174:175]
	v_mul_f64 v[84:85], v[118:119], s[26:27]
	v_fma_f64 v[92:93], v[100:101], s[4:5], -v[132:133]
	v_mul_f64 v[122:123], v[118:119], s[0:1]
	v_mul_f64 v[56:57], v[118:119], s[36:37]
	v_fma_f64 v[126:127], v[106:107], s[6:7], v[128:129]
	v_mul_f64 v[158:159], v[118:119], s[42:43]
	v_fma_f64 v[112:113], v[100:101], s[6:7], v[174:175]
	v_add_f64 v[30:31], v[144:145], v[30:31]
	v_fma_f64 v[100:101], v[100:101], s[4:5], v[132:133]
	v_add_f64 v[34:35], v[98:99], v[34:35]
	;; [unrolled: 2-line block ×3, first 2 shown]
	v_fma_f64 v[50:51], v[106:107], s[6:7], -v[128:129]
	v_add_f64 v[14:15], v[12:13], v[8:9]
	v_add_f64 v[16:17], v[102:103], v[20:21]
	;; [unrolled: 1-line block ×6, first 2 shown]
	v_fma_f64 v[90:91], v[106:107], s[4:5], -v[94:95]
	v_add_f64 v[36:37], v[88:89], v[36:37]
	v_fma_f64 v[96:97], v[104:105], s[16:17], -v[42:43]
	v_fma_f64 v[94:95], v[104:105], s[22:23], -v[130:131]
	;; [unrolled: 1-line block ×3, first 2 shown]
	v_fma_f64 v[88:89], v[108:109], s[16:17], v[122:123]
	v_add_f64 v[48:49], v[140:141], v[170:171]
	v_fma_f64 v[102:103], v[108:109], s[4:5], v[110:111]
	v_fma_f64 v[120:121], v[108:109], s[34:35], -v[56:57]
	v_fma_f64 v[172:173], v[104:105], s[34:35], -v[185:186]
	v_add_f64 v[30:31], v[116:117], v[30:31]
	v_fma_f64 v[56:57], v[108:109], s[34:35], v[56:57]
	v_add_f64 v[34:35], v[92:93], v[34:35]
	v_fma_f64 v[92:93], v[108:109], s[22:23], v[84:85]
	;; [unrolled: 2-line block ×3, first 2 shown]
	v_fma_f64 v[142:143], v[108:109], s[18:19], -v[158:159]
	v_add_f64 v[98:99], v[98:99], v[16:17]
	v_add_f64 v[106:107], v[126:127], v[18:19]
	;; [unrolled: 1-line block ×4, first 2 shown]
	v_fma_f64 v[158:159], v[104:105], s[34:35], v[185:186]
	v_fma_f64 v[86:87], v[104:105], s[4:5], v[86:87]
	v_add_f64 v[58:59], v[162:163], v[58:59]
	v_fma_f64 v[110:111], v[108:109], s[4:5], -v[110:111]
	v_add_f64 v[116:117], v[156:157], v[38:39]
	v_fma_f64 v[118:119], v[104:105], s[16:17], v[42:43]
	v_add_f64 v[112:113], v[112:113], v[44:45]
	v_fma_f64 v[122:123], v[108:109], s[16:17], -v[122:123]
	v_add_f64 v[50:51], v[50:51], v[82:83]
	;; [unrolled: 4-line block ×3, first 2 shown]
	v_add_f64 v[16:17], v[96:97], v[30:31]
	v_add_f64 v[32:33], v[10:11], v[6:7]
	;; [unrolled: 1-line block ×22, first 2 shown]
	v_lshl_add_u32 v4, v78, 8, v176
	ds_write_b128 v4, v[30:33]
	ds_write_b128 v4, v[18:21] offset:16
	ds_write_b128 v4, v[14:17] offset:32
	;; [unrolled: 1-line block ×16, first 2 shown]
.LBB0_15:
	s_or_b32 exec_lo, exec_lo, s33
	v_and_b32_e32 v4, 0xff, v78
	v_mov_b32_e32 v5, 9
	s_load_dwordx2 s[2:3], s[2:3], 0x0
	s_waitcnt lgkmcnt(0)
	s_waitcnt_vscnt null, 0x0
	s_barrier
	v_mul_lo_u16 v4, 0xf1, v4
	buffer_gl0_inv
	s_mov_b32 s6, 0x134454ff
	s_mov_b32 s7, 0xbfee6f0e
	;; [unrolled: 1-line block ×3, first 2 shown]
	v_lshrrev_b16 v44, 12, v4
	s_mov_b32 s4, s6
	s_mov_b32 s8, 0x4755a5e
	;; [unrolled: 1-line block ×4, first 2 shown]
	v_mul_lo_u16 v4, v44, 17
	s_mov_b32 s14, s8
	s_mov_b32 s0, 0x372fe950
	;; [unrolled: 1-line block ×4, first 2 shown]
	v_sub_nc_u16 v45, v78, v4
	s_mov_b32 s17, 0x3fe9e377
	s_mov_b32 s19, 0xbfd3c6ef
	;; [unrolled: 1-line block ×4, first 2 shown]
	v_mul_u32_u24_sdwa v4, v45, v5 dst_sel:DWORD dst_unused:UNUSED_PAD src0_sel:BYTE_0 src1_sel:DWORD
	s_mov_b32 s20, s16
	v_lshlrev_b32_e32 v36, 4, v4
	s_clause 0x8
	global_load_dwordx4 v[4:7], v36, s[12:13] offset:32
	global_load_dwordx4 v[8:11], v36, s[12:13] offset:64
	;; [unrolled: 1-line block ×4, first 2 shown]
	global_load_dwordx4 v[20:23], v36, s[12:13]
	global_load_dwordx4 v[24:27], v36, s[12:13] offset:16
	global_load_dwordx4 v[28:31], v36, s[12:13] offset:48
	;; [unrolled: 1-line block ×4, first 2 shown]
	ds_read_b128 v[40:43], v176 offset:8976
	ds_read_b128 v[46:49], v176 offset:14960
	;; [unrolled: 1-line block ×9, first 2 shown]
	ds_read_b128 v[86:89], v176
	s_waitcnt vmcnt(0) lgkmcnt(0)
	s_barrier
	buffer_gl0_inv
	v_mul_f64 v[74:75], v[40:41], v[6:7]
	v_mul_f64 v[90:91], v[46:47], v[10:11]
	;; [unrolled: 1-line block ×18, first 2 shown]
	v_fma_f64 v[42:43], v[42:43], v[4:5], -v[74:75]
	v_fma_f64 v[48:49], v[48:49], v[8:9], -v[90:91]
	;; [unrolled: 1-line block ×4, first 2 shown]
	v_fma_f64 v[62:63], v[62:63], v[24:25], v[98:99]
	v_fma_f64 v[24:25], v[64:65], v[24:25], -v[26:27]
	v_fma_f64 v[4:5], v[40:41], v[4:5], v[6:7]
	v_fma_f64 v[6:7], v[66:67], v[28:29], v[100:101]
	v_fma_f64 v[26:27], v[68:69], v[28:29], -v[30:31]
	v_fma_f64 v[8:9], v[46:47], v[8:9], v[10:11]
	;; [unrolled: 3-line block ×3, first 2 shown]
	v_fma_f64 v[14:15], v[54:55], v[16:17], v[18:19]
	v_fma_f64 v[16:17], v[60:61], v[20:21], -v[96:97]
	v_fma_f64 v[30:31], v[84:85], v[36:37], -v[104:105]
	v_fma_f64 v[10:11], v[82:83], v[36:37], v[38:39]
	v_fma_f64 v[20:21], v[58:59], v[20:21], v[22:23]
	v_add_f64 v[96:97], v[42:43], -v[48:49]
	v_add_f64 v[18:19], v[48:49], v[52:53]
	v_add_f64 v[34:35], v[42:43], v[56:57]
	v_add_f64 v[94:95], v[42:43], -v[56:57]
	v_add_f64 v[22:23], v[86:87], v[62:63]
	v_add_f64 v[98:99], v[56:57], -v[52:53]
	v_add_f64 v[100:101], v[48:49], -v[42:43]
	;; [unrolled: 1-line block ×5, first 2 shown]
	v_add_f64 v[36:37], v[6:7], v[28:29]
	v_add_f64 v[74:75], v[26:27], v[32:33]
	;; [unrolled: 1-line block ×4, first 2 shown]
	v_add_f64 v[60:61], v[4:5], -v[14:15]
	v_add_f64 v[64:65], v[8:9], -v[12:13]
	;; [unrolled: 1-line block ×3, first 2 shown]
	v_add_f64 v[66:67], v[62:63], v[10:11]
	v_add_f64 v[92:93], v[24:25], v[30:31]
	v_add_f64 v[38:39], v[24:25], -v[30:31]
	v_add_f64 v[40:41], v[26:27], -v[32:33]
	;; [unrolled: 1-line block ×4, first 2 shown]
	v_fma_f64 v[18:19], v[18:19], -0.5, v[16:17]
	v_fma_f64 v[34:35], v[34:35], -0.5, v[16:17]
	v_add_f64 v[72:73], v[88:89], v[24:25]
	v_add_f64 v[62:63], v[62:63], -v[10:11]
	v_add_f64 v[82:83], v[6:7], -v[28:29]
	;; [unrolled: 1-line block ×5, first 2 shown]
	v_add_f64 v[16:17], v[16:17], v[42:43]
	v_fma_f64 v[36:37], v[36:37], -0.5, v[86:87]
	v_add_f64 v[6:7], v[22:23], v[6:7]
	v_fma_f64 v[54:55], v[54:55], -0.5, v[20:21]
	v_fma_f64 v[58:59], v[58:59], -0.5, v[20:21]
	v_add_f64 v[20:21], v[20:21], v[4:5]
	v_add_f64 v[4:5], v[8:9], -v[4:5]
	v_add_f64 v[42:43], v[46:47], v[50:51]
	v_fma_f64 v[22:23], v[66:67], -0.5, v[86:87]
	v_fma_f64 v[46:47], v[74:75], -0.5, v[88:89]
	;; [unrolled: 1-line block ×3, first 2 shown]
	v_add_f64 v[66:67], v[96:97], v[98:99]
	v_add_f64 v[74:75], v[100:101], v[102:103]
	v_add_f64 v[84:85], v[24:25], -v[26:27]
	v_fma_f64 v[108:109], v[60:61], s[4:5], v[18:19]
	v_fma_f64 v[110:111], v[64:65], s[6:7], v[34:35]
	;; [unrolled: 1-line block ×4, first 2 shown]
	v_add_f64 v[90:91], v[30:31], -v[32:33]
	v_add_f64 v[24:25], v[26:27], -v[24:25]
	;; [unrolled: 1-line block ×3, first 2 shown]
	v_add_f64 v[26:27], v[72:73], v[26:27]
	v_add_f64 v[16:17], v[16:17], v[48:49]
	v_fma_f64 v[48:49], v[38:39], s[6:7], v[36:37]
	v_fma_f64 v[36:37], v[38:39], s[4:5], v[36:37]
	;; [unrolled: 1-line block ×6, first 2 shown]
	v_add_f64 v[8:9], v[20:21], v[8:9]
	v_add_f64 v[20:21], v[112:113], v[114:115]
	;; [unrolled: 1-line block ×4, first 2 shown]
	v_fma_f64 v[92:93], v[64:65], s[14:15], v[108:109]
	v_fma_f64 v[96:97], v[60:61], s[14:15], v[110:111]
	v_fma_f64 v[34:35], v[60:61], s[8:9], v[34:35]
	v_fma_f64 v[18:19], v[64:65], s[8:9], v[18:19]
	v_add_f64 v[60:61], v[68:69], v[70:71]
	v_fma_f64 v[64:65], v[40:41], s[4:5], v[22:23]
	v_fma_f64 v[22:23], v[40:41], s[6:7], v[22:23]
	;; [unrolled: 1-line block ×10, first 2 shown]
	v_add_f64 v[24:25], v[24:25], v[106:107]
	v_add_f64 v[26:27], v[26:27], v[32:33]
	;; [unrolled: 1-line block ×4, first 2 shown]
	v_fma_f64 v[16:17], v[40:41], s[8:9], v[48:49]
	v_fma_f64 v[28:29], v[40:41], s[14:15], v[36:37]
	v_add_f64 v[10:11], v[6:7], v[10:11]
	v_fma_f64 v[88:89], v[66:67], s[0:1], v[92:93]
	v_fma_f64 v[92:93], v[74:75], s[0:1], v[96:97]
	;; [unrolled: 1-line block ×4, first 2 shown]
	v_add_f64 v[66:67], v[84:85], v[90:91]
	v_fma_f64 v[32:33], v[38:39], s[8:9], v[64:65]
	v_fma_f64 v[22:23], v[38:39], s[14:15], v[22:23]
	;; [unrolled: 1-line block ×10, first 2 shown]
	v_add_f64 v[26:27], v[26:27], v[30:31]
	v_add_f64 v[8:9], v[8:9], v[14:15]
	;; [unrolled: 1-line block ×3, first 2 shown]
	v_fma_f64 v[30:31], v[42:43], s[0:1], v[16:17]
	v_fma_f64 v[42:43], v[42:43], s[0:1], v[28:29]
	v_mul_f64 v[52:53], v[88:89], s[8:9]
	v_mul_f64 v[54:55], v[92:93], s[6:7]
	;; [unrolled: 1-line block ×8, first 2 shown]
	v_fma_f64 v[32:33], v[60:61], s[0:1], v[32:33]
	v_fma_f64 v[56:57], v[60:61], s[0:1], v[22:23]
	v_fma_f64 v[60:61], v[66:67], s[0:1], v[36:37]
	v_fma_f64 v[66:67], v[66:67], s[0:1], v[38:39]
	v_fma_f64 v[38:39], v[24:25], s[0:1], v[40:41]
	v_fma_f64 v[46:47], v[24:25], s[0:1], v[46:47]
	v_add_f64 v[24:25], v[10:11], -v[8:9]
	v_add_f64 v[6:7], v[26:27], v[12:13]
	v_add_f64 v[26:27], v[26:27], -v[12:13]
	v_fma_f64 v[28:29], v[48:49], s[16:17], v[52:53]
	v_fma_f64 v[36:37], v[50:51], s[0:1], v[54:55]
	;; [unrolled: 1-line block ×8, first 2 shown]
	v_add_f64 v[4:5], v[10:11], v[8:9]
	v_mov_b32_e32 v62, 0xaa0
	v_mov_b32_e32 v63, 4
	v_cmp_gt_u32_e64 s0, 0xaa, v78
	v_mul_u32_u24_sdwa v44, v44, v62 dst_sel:DWORD dst_unused:UNUSED_PAD src0_sel:WORD_0 src1_sel:DWORD
	v_lshlrev_b32_sdwa v45, v63, v45 dst_sel:DWORD dst_unused:UNUSED_PAD src0_sel:DWORD src1_sel:BYTE_0
	v_add3_u32 v44, 0, v44, v45
	v_add_f64 v[8:9], v[30:31], v[28:29]
	v_add_f64 v[12:13], v[32:33], v[36:37]
	;; [unrolled: 1-line block ×8, first 2 shown]
	v_add_f64 v[28:29], v[30:31], -v[28:29]
	v_add_f64 v[32:33], v[32:33], -v[36:37]
	;; [unrolled: 1-line block ×8, first 2 shown]
	ds_write_b128 v44, v[4:7]
	ds_write_b128 v44, v[24:27] offset:1360
	ds_write_b128 v44, v[8:11] offset:272
	;; [unrolled: 1-line block ×9, first 2 shown]
	s_waitcnt lgkmcnt(0)
	s_barrier
	buffer_gl0_inv
	s_and_saveexec_b32 s1, s0
	s_cbranch_execz .LBB0_17
; %bb.16:
	ds_read_b128 v[4:7], v176
	ds_read_b128 v[8:11], v176 offset:2720
	ds_read_b128 v[12:15], v176 offset:5440
	;; [unrolled: 1-line block ×10, first 2 shown]
.LBB0_17:
	s_or_b32 exec_lo, exec_lo, s1
	s_waitcnt lgkmcnt(0)
	s_barrier
	buffer_gl0_inv
	s_and_saveexec_b32 s33, s0
	s_cbranch_execz .LBB0_19
; %bb.18:
	v_add_nc_u32_e32 v44, 0xffffff56, v78
	v_mov_b32_e32 v45, 0
	s_mov_b32 s8, 0x43842ef
	s_mov_b32 s20, 0xbb3a28a1
	;; [unrolled: 1-line block ×3, first 2 shown]
	v_cndmask_b32_e64 v44, v44, v78, s0
	s_mov_b32 s24, 0xfd768dbf
	s_mov_b32 s9, 0xbfefac9e
	;; [unrolled: 1-line block ×4, first 2 shown]
	v_mul_i32_i24_e32 v44, 10, v44
	s_mov_b32 s21, 0xbfe82f19
	s_mov_b32 s23, 0x3fe14ced
	s_mov_b32 s25, 0xbfd207e7
	s_mov_b32 s27, 0xbfe14ced
	v_lshlrev_b64 v[44:45], 4, v[44:45]
	s_mov_b32 s29, 0x3fefac9e
	s_mov_b32 s26, s22
	;; [unrolled: 1-line block ×5, first 2 shown]
	v_add_co_u32 v62, s0, s12, v44
	v_add_co_ci_u32_e64 v63, s0, s13, v45, s0
	s_mov_b32 s4, 0xd9c712b6
	v_add_co_u32 v44, s0, 0x800, v62
	v_add_co_ci_u32_e64 v45, s0, 0, v63, s0
	v_add_co_u32 v66, s0, 0x9d0, v62
	v_add_co_ci_u32_e64 v67, s0, 0, v63, s0
	;; [unrolled: 2-line block ×3, first 2 shown]
	v_add_co_u32 v74, s0, 0xa10, v62
	s_clause 0x3
	global_load_dwordx4 v[46:49], v[44:45], off offset:464
	global_load_dwordx4 v[50:53], v[66:67], off offset:16
	;; [unrolled: 1-line block ×4, first 2 shown]
	v_add_co_ci_u32_e64 v75, s0, 0, v63, s0
	s_clause 0x5
	global_load_dwordx4 v[62:65], v[70:71], off offset:32
	global_load_dwordx4 v[66:69], v[66:67], off offset:48
	global_load_dwordx4 v[70:73], v[70:71], off offset:16
	global_load_dwordx4 v[82:85], v[44:45], off offset:528
	global_load_dwordx4 v[86:89], v[44:45], off offset:400
	global_load_dwordx4 v[90:93], v[74:75], off offset:16
	s_mov_b32 s0, 0x640f44db
	s_mov_b32 s6, 0x7f775887
	s_mov_b32 s16, 0x8764f0ba
	s_mov_b32 s18, 0x9bcd5057
	s_mov_b32 s1, 0xbfc2375f
	s_mov_b32 s5, 0x3fda9628
	s_mov_b32 s7, 0xbfe4f49e
	s_mov_b32 s17, 0x3feaeb8c
	s_mov_b32 s19, 0xbfeeb42a
	s_waitcnt vmcnt(9)
	v_mul_f64 v[44:45], v[26:27], v[48:49]
	s_waitcnt vmcnt(8)
	v_mul_f64 v[74:75], v[30:31], v[52:53]
	v_mul_f64 v[48:49], v[24:25], v[48:49]
	s_waitcnt vmcnt(3)
	v_mul_f64 v[102:103], v[14:15], v[72:73]
	s_waitcnt vmcnt(2)
	;; [unrolled: 2-line block ×4, first 2 shown]
	v_mul_f64 v[108:109], v[2:3], v[92:93]
	v_mul_f64 v[88:89], v[8:9], v[88:89]
	;; [unrolled: 1-line block ×14, first 2 shown]
	v_fma_f64 v[44:45], v[24:25], v[46:47], v[44:45]
	v_fma_f64 v[24:25], v[28:29], v[50:51], v[74:75]
	v_fma_f64 v[28:29], v[26:27], v[46:47], -v[48:49]
	v_fma_f64 v[46:47], v[12:13], v[70:71], v[102:103]
	v_fma_f64 v[12:13], v[40:41], v[82:83], v[104:105]
	;; [unrolled: 1-line block ×4, first 2 shown]
	v_fma_f64 v[10:11], v[10:11], v[86:87], -v[88:89]
	v_fma_f64 v[2:3], v[2:3], v[90:91], -v[92:93]
	;; [unrolled: 1-line block ×3, first 2 shown]
	v_fma_f64 v[30:31], v[20:21], v[58:59], v[94:95]
	v_fma_f64 v[20:21], v[32:33], v[54:55], v[96:97]
	v_fma_f64 v[32:33], v[22:23], v[58:59], -v[60:61]
	v_fma_f64 v[22:23], v[34:35], v[54:55], -v[56:57]
	v_fma_f64 v[34:35], v[16:17], v[62:63], v[98:99]
	v_fma_f64 v[16:17], v[36:37], v[66:67], v[100:101]
	v_fma_f64 v[36:37], v[18:19], v[62:63], -v[64:65]
	v_fma_f64 v[14:15], v[14:15], v[70:71], -v[72:73]
	;; [unrolled: 1-line block ×4, first 2 shown]
	v_add_f64 v[38:39], v[44:45], -v[24:25]
	v_add_f64 v[74:75], v[44:45], v[24:25]
	v_add_f64 v[50:51], v[46:47], -v[12:13]
	v_add_f64 v[86:87], v[46:47], v[12:13]
	v_add_f64 v[52:53], v[40:41], -v[0:1]
	v_add_f64 v[88:89], v[40:41], v[0:1]
	v_add_f64 v[62:63], v[10:11], -v[2:3]
	v_add_f64 v[72:73], v[10:11], v[2:3]
	v_add_f64 v[10:11], v[6:7], v[10:11]
	v_add_f64 v[40:41], v[4:5], v[40:41]
	v_add_f64 v[42:43], v[30:31], -v[20:21]
	v_add_f64 v[54:55], v[28:29], -v[26:27]
	;; [unrolled: 1-line block ×4, first 2 shown]
	v_add_f64 v[64:65], v[28:29], v[26:27]
	v_add_f64 v[66:67], v[32:33], v[22:23]
	v_add_f64 v[60:61], v[14:15], -v[8:9]
	v_add_f64 v[70:71], v[14:15], v[8:9]
	v_add_f64 v[58:59], v[36:37], -v[18:19]
	v_add_f64 v[68:69], v[36:37], v[18:19]
	v_add_f64 v[84:85], v[34:35], v[16:17]
	v_mul_f64 v[90:91], v[38:39], s[8:9]
	v_mul_f64 v[110:111], v[38:39], s[14:15]
	;; [unrolled: 1-line block ×9, first 2 shown]
	v_add_f64 v[10:11], v[10:11], v[14:15]
	v_add_f64 v[14:15], v[40:41], v[46:47]
	v_mul_f64 v[92:93], v[42:43], s[14:15]
	v_mul_f64 v[112:113], v[42:43], s[24:25]
	;; [unrolled: 1-line block ×13, first 2 shown]
	s_mov_b32 s15, 0xbfed1bb4
	v_mul_f64 v[94:95], v[48:49], s[20:21]
	v_mul_f64 v[100:101], v[54:55], s[8:9]
	;; [unrolled: 1-line block ×6, first 2 shown]
	v_add_f64 v[10:11], v[10:11], v[36:37]
	v_add_f64 v[14:15], v[14:15], v[34:35]
	v_mul_f64 v[48:49], v[48:49], s[8:9]
	v_mul_f64 v[54:55], v[54:55], s[24:25]
	v_mul_f64 v[40:41], v[52:53], s[14:15]
	v_mul_f64 v[46:47], v[62:63], s[14:15]
	v_mul_f64 v[96:97], v[50:51], s[22:23]
	v_mul_f64 v[106:107], v[60:61], s[22:23]
	v_mul_f64 v[116:117], v[50:51], s[28:29]
	v_mul_f64 v[126:127], v[60:61], s[28:29]
	v_mul_f64 v[136:137], v[50:51], s[30:31]
	v_mul_f64 v[146:147], v[60:61], s[30:31]
	v_mul_f64 v[156:157], v[50:51], s[20:21]
	v_mul_f64 v[164:165], v[60:61], s[20:21]
	v_mul_f64 v[50:51], v[50:51], s[14:15]
	v_mul_f64 v[52:53], v[60:61], s[14:15]
	v_fma_f64 v[60:61], v[64:65], s[0:1], v[90:91]
	v_fma_f64 v[62:63], v[66:67], s[4:5], v[92:93]
	v_fma_f64 v[90:91], v[64:65], s[0:1], -v[90:91]
	v_fma_f64 v[92:93], v[66:67], s[4:5], -v[92:93]
	v_fma_f64 v[187:188], v[64:65], s[4:5], v[110:111]
	v_fma_f64 v[189:190], v[66:67], s[18:19], v[112:113]
	v_add_f64 v[10:11], v[10:11], v[32:33]
	v_add_f64 v[14:15], v[14:15], v[30:31]
	v_fma_f64 v[110:111], v[64:65], s[4:5], -v[110:111]
	v_fma_f64 v[112:113], v[66:67], s[18:19], -v[112:113]
	v_fma_f64 v[207:208], v[64:65], s[6:7], v[130:131]
	v_fma_f64 v[209:210], v[66:67], s[16:17], v[132:133]
	v_fma_f64 v[225:226], v[88:89], s[0:1], -v[148:149]
	v_fma_f64 v[130:131], v[64:65], s[6:7], -v[130:131]
	;; [unrolled: 1-line block ×3, first 2 shown]
	v_fma_f64 v[34:35], v[88:89], s[0:1], v[148:149]
	v_fma_f64 v[36:37], v[64:65], s[16:17], v[150:151]
	;; [unrolled: 1-line block ×3, first 2 shown]
	v_fma_f64 v[150:151], v[64:65], s[16:17], -v[150:151]
	v_fma_f64 v[152:153], v[66:67], s[0:1], -v[152:153]
	v_fma_f64 v[239:240], v[64:65], s[18:19], v[38:39]
	v_fma_f64 v[241:242], v[66:67], s[6:7], v[42:43]
	v_fma_f64 v[38:39], v[64:65], s[18:19], -v[38:39]
	v_fma_f64 v[42:43], v[66:67], s[6:7], -v[42:43]
	;; [unrolled: 1-line block ×3, first 2 shown]
	v_fma_f64 v[66:67], v[88:89], s[16:17], v[168:169]
	v_add_f64 v[82:83], v[30:31], v[20:21]
	v_mul_f64 v[104:105], v[58:59], s[20:21]
	v_mul_f64 v[122:123], v[56:57], s[24:25]
	;; [unrolled: 1-line block ×8, first 2 shown]
	v_fma_f64 v[174:175], v[72:73], s[18:19], v[98:99]
	v_fma_f64 v[185:186], v[88:89], s[18:19], -v[108:109]
	v_fma_f64 v[98:99], v[72:73], s[18:19], -v[98:99]
	v_fma_f64 v[108:109], v[88:89], s[18:19], v[108:109]
	v_fma_f64 v[195:196], v[72:73], s[6:7], v[118:119]
	v_fma_f64 v[205:206], v[88:89], s[6:7], -v[128:129]
	v_fma_f64 v[128:129], v[88:89], s[6:7], v[128:129]
	v_fma_f64 v[215:216], v[72:73], s[0:1], v[138:139]
	v_fma_f64 v[138:139], v[72:73], s[0:1], -v[138:139]
	v_fma_f64 v[118:119], v[72:73], s[6:7], -v[118:119]
	v_fma_f64 v[170:171], v[68:69], s[6:7], v[94:95]
	v_fma_f64 v[177:178], v[74:75], s[0:1], -v[100:101]
	v_fma_f64 v[94:95], v[68:69], s[6:7], -v[94:95]
	v_fma_f64 v[100:101], v[74:75], s[0:1], v[100:101]
	v_fma_f64 v[191:192], v[68:69], s[16:17], v[114:115]
	v_fma_f64 v[197:198], v[74:75], s[4:5], -v[120:121]
	v_fma_f64 v[114:115], v[68:69], s[16:17], -v[114:115]
	v_fma_f64 v[120:121], v[74:75], s[4:5], v[120:121]
	v_fma_f64 v[211:212], v[68:69], s[4:5], v[134:135]
	v_fma_f64 v[217:218], v[74:75], s[6:7], -v[140:141]
	v_fma_f64 v[134:135], v[68:69], s[4:5], -v[134:135]
	v_fma_f64 v[140:141], v[74:75], s[6:7], v[140:141]
	v_fma_f64 v[227:228], v[68:69], s[18:19], v[154:155]
	v_fma_f64 v[231:232], v[74:75], s[16:17], -v[158:159]
	v_fma_f64 v[154:155], v[68:69], s[18:19], -v[154:155]
	v_fma_f64 v[158:159], v[74:75], s[16:17], v[158:159]
	v_fma_f64 v[243:244], v[68:69], s[0:1], v[48:49]
	v_fma_f64 v[30:31], v[72:73], s[16:17], v[166:167]
	v_fma_f64 v[32:33], v[74:75], s[18:19], -v[54:55]
	v_fma_f64 v[48:49], v[68:69], s[0:1], -v[48:49]
	v_fma_f64 v[54:55], v[74:75], s[18:19], v[54:55]
	v_fma_f64 v[68:69], v[72:73], s[4:5], v[40:41]
	v_fma_f64 v[74:75], v[88:89], s[4:5], -v[46:47]
	v_fma_f64 v[40:41], v[72:73], s[4:5], -v[40:41]
	v_fma_f64 v[46:47], v[88:89], s[4:5], v[46:47]
	v_add_f64 v[10:11], v[10:11], v[28:29]
	v_add_f64 v[14:15], v[14:15], v[44:45]
	v_fma_f64 v[249:250], v[88:89], s[16:17], -v[168:169]
	v_fma_f64 v[72:73], v[70:71], s[4:5], v[50:51]
	v_fma_f64 v[50:51], v[70:71], s[4:5], -v[50:51]
	v_fma_f64 v[28:29], v[86:87], s[4:5], v[52:53]
	v_add_f64 v[64:65], v[6:7], v[64:65]
	v_add_f64 v[66:67], v[4:5], v[66:67]
	v_fma_f64 v[172:173], v[70:71], s[16:17], v[96:97]
	v_fma_f64 v[179:180], v[82:83], s[4:5], -v[102:103]
	v_fma_f64 v[181:182], v[84:85], s[6:7], -v[104:105]
	v_fma_f64 v[183:184], v[86:87], s[16:17], -v[106:107]
	v_fma_f64 v[96:97], v[70:71], s[16:17], -v[96:97]
	v_fma_f64 v[102:103], v[82:83], s[4:5], v[102:103]
	v_fma_f64 v[104:105], v[84:85], s[6:7], v[104:105]
	v_fma_f64 v[106:107], v[86:87], s[16:17], v[106:107]
	v_fma_f64 v[193:194], v[70:71], s[0:1], v[116:117]
	v_fma_f64 v[199:200], v[82:83], s[18:19], -v[122:123]
	v_fma_f64 v[201:202], v[84:85], s[16:17], -v[124:125]
	v_fma_f64 v[203:204], v[86:87], s[0:1], -v[126:127]
	v_fma_f64 v[116:117], v[70:71], s[0:1], -v[116:117]
	v_fma_f64 v[122:123], v[82:83], s[18:19], v[122:123]
	v_fma_f64 v[124:125], v[84:85], s[16:17], v[124:125]
	v_fma_f64 v[126:127], v[86:87], s[0:1], v[126:127]
	;; [unrolled: 8-line block ×4, first 2 shown]
	v_fma_f64 v[245:246], v[82:83], s[6:7], -v[56:57]
	v_fma_f64 v[247:248], v[84:85], s[0:1], -v[58:59]
	v_fma_f64 v[56:57], v[82:83], s[6:7], v[56:57]
	v_fma_f64 v[58:59], v[84:85], s[0:1], v[58:59]
	v_fma_f64 v[82:83], v[86:87], s[4:5], -v[52:53]
	v_add_f64 v[44:45], v[6:7], v[174:175]
	v_add_f64 v[52:53], v[4:5], v[185:186]
	;; [unrolled: 1-line block ×108, first 2 shown]
	ds_write_b128 v176, v[28:31] offset:2720
	ds_write_b128 v176, v[24:27] offset:8160
	;; [unrolled: 1-line block ×9, first 2 shown]
	ds_write_b128 v176, v[0:3]
	ds_write_b128 v176, v[32:35] offset:27200
.LBB0_19:
	s_or_b32 exec_lo, exec_lo, s33
	s_waitcnt lgkmcnt(0)
	s_barrier
	buffer_gl0_inv
	ds_read_b128 v[4:7], v176
	v_lshlrev_b32_e32 v0, 4, v78
	s_add_u32 s1, s12, 0x73d0
	s_addc_u32 s4, s13, 0
	s_mov_b32 s5, exec_lo
                                        ; implicit-def: $vgpr8_vgpr9
                                        ; implicit-def: $vgpr10_vgpr11
	v_sub_nc_u32_e32 v12, 0, v0
                                        ; implicit-def: $vgpr0_vgpr1
	v_cmpx_ne_u32_e32 0, v78
	s_xor_b32 s5, exec_lo, s5
	s_cbranch_execz .LBB0_21
; %bb.20:
	v_mov_b32_e32 v79, 0
	v_lshlrev_b64 v[0:1], 4, v[78:79]
	v_add_co_u32 v0, s0, s1, v0
	v_add_co_ci_u32_e64 v1, s0, s4, v1, s0
	global_load_dwordx4 v[13:16], v[0:1], off
	ds_read_b128 v[0:3], v12 offset:29920
	s_waitcnt lgkmcnt(0)
	v_add_f64 v[8:9], v[4:5], -v[0:1]
	v_add_f64 v[10:11], v[6:7], v[2:3]
	v_add_f64 v[2:3], v[6:7], -v[2:3]
	v_add_f64 v[0:1], v[4:5], v[0:1]
	v_mul_f64 v[6:7], v[8:9], 0.5
	v_mul_f64 v[4:5], v[10:11], 0.5
	;; [unrolled: 1-line block ×3, first 2 shown]
	s_waitcnt vmcnt(0)
	v_mul_f64 v[8:9], v[6:7], v[15:16]
	v_fma_f64 v[10:11], v[4:5], v[15:16], v[2:3]
	v_fma_f64 v[2:3], v[4:5], v[15:16], -v[2:3]
	v_fma_f64 v[17:18], v[0:1], 0.5, v[8:9]
	v_fma_f64 v[0:1], v[0:1], 0.5, -v[8:9]
	v_fma_f64 v[10:11], -v[13:14], v[6:7], v[10:11]
	v_fma_f64 v[2:3], -v[13:14], v[6:7], v[2:3]
	v_fma_f64 v[8:9], v[4:5], v[13:14], v[17:18]
	v_fma_f64 v[0:1], -v[4:5], v[13:14], v[0:1]
                                        ; implicit-def: $vgpr4_vgpr5
.LBB0_21:
	s_andn2_saveexec_b32 s0, s5
	s_cbranch_execz .LBB0_23
; %bb.22:
	v_mov_b32_e32 v15, 0
	s_waitcnt lgkmcnt(0)
	v_add_f64 v[8:9], v[4:5], v[6:7]
	v_add_f64 v[0:1], v[4:5], -v[6:7]
	v_mov_b32_e32 v10, 0
	v_mov_b32_e32 v11, 0
	ds_read_b64 v[13:14], v15 offset:14968
	v_mov_b32_e32 v2, v10
	v_mov_b32_e32 v3, v11
	s_waitcnt lgkmcnt(0)
	v_xor_b32_e32 v14, 0x80000000, v14
	ds_write_b64 v15, v[13:14] offset:14968
.LBB0_23:
	s_or_b32 exec_lo, exec_lo, s0
	s_waitcnt lgkmcnt(0)
	v_add_nc_u32_e32 v4, 0xbb, v78
	v_mov_b32_e32 v5, 0
	ds_write2_b64 v176, v[8:9], v[10:11] offset1:1
	ds_write_b128 v12, v[0:3] offset:29920
	v_lshlrev_b64 v[6:7], 4, v[4:5]
	v_add_nc_u32_e32 v4, 0x176, v78
	v_add_co_u32 v6, s0, s1, v6
	v_add_co_ci_u32_e64 v7, s0, s4, v7, s0
	global_load_dwordx4 v[13:16], v[6:7], off
	v_lshlrev_b64 v[6:7], 4, v[4:5]
	v_add_nc_u32_e32 v4, 0x231, v78
	v_lshlrev_b64 v[10:11], 4, v[4:5]
	v_add_co_u32 v6, s0, s1, v6
	v_add_co_ci_u32_e64 v7, s0, s4, v7, s0
	v_add_nc_u32_e32 v4, 0x2ec, v78
	v_add_co_u32 v10, s0, s1, v10
	global_load_dwordx4 v[17:20], v[6:7], off
	ds_read_b128 v[0:3], v176 offset:2992
	ds_read_b128 v[6:9], v12 offset:26928
	v_add_co_ci_u32_e64 v11, s0, s4, v11, s0
	global_load_dwordx4 v[21:24], v[10:11], off
	s_waitcnt lgkmcnt(0)
	v_add_f64 v[10:11], v[0:1], -v[6:7]
	v_add_f64 v[25:26], v[2:3], v[8:9]
	v_add_f64 v[2:3], v[2:3], -v[8:9]
	v_add_f64 v[0:1], v[0:1], v[6:7]
	v_mul_f64 v[8:9], v[10:11], 0.5
	v_mul_f64 v[10:11], v[25:26], 0.5
	;; [unrolled: 1-line block ×3, first 2 shown]
	s_waitcnt vmcnt(2)
	v_mul_f64 v[6:7], v[8:9], v[15:16]
	v_fma_f64 v[25:26], v[10:11], v[15:16], v[2:3]
	v_fma_f64 v[2:3], v[10:11], v[15:16], -v[2:3]
	v_fma_f64 v[15:16], v[0:1], 0.5, v[6:7]
	v_fma_f64 v[0:1], v[0:1], 0.5, -v[6:7]
	v_fma_f64 v[6:7], -v[13:14], v[8:9], v[25:26]
	v_fma_f64 v[2:3], -v[13:14], v[8:9], v[2:3]
	v_fma_f64 v[8:9], v[10:11], v[13:14], v[15:16]
	v_fma_f64 v[0:1], -v[10:11], v[13:14], v[0:1]
	v_lshlrev_b64 v[10:11], 4, v[4:5]
	v_add_nc_u32_e32 v13, 0x800, v176
	v_add_nc_u32_e32 v4, 0x1000, v176
	ds_write2_b64 v13, v[8:9], v[6:7] offset0:118 offset1:119
	ds_write_b128 v12, v[0:3] offset:26928
	v_add_co_u32 v10, s0, s1, v10
	ds_read_b128 v[0:3], v176 offset:5984
	ds_read_b128 v[6:9], v12 offset:23936
	v_add_co_ci_u32_e64 v11, s0, s4, v11, s0
	global_load_dwordx4 v[13:16], v[10:11], off
	s_waitcnt lgkmcnt(0)
	v_add_f64 v[10:11], v[0:1], -v[6:7]
	v_add_f64 v[25:26], v[2:3], v[8:9]
	v_add_f64 v[2:3], v[2:3], -v[8:9]
	v_add_f64 v[0:1], v[0:1], v[6:7]
	v_mul_f64 v[8:9], v[10:11], 0.5
	v_mul_f64 v[10:11], v[25:26], 0.5
	;; [unrolled: 1-line block ×3, first 2 shown]
	s_waitcnt vmcnt(2)
	v_mul_f64 v[6:7], v[8:9], v[19:20]
	v_fma_f64 v[25:26], v[10:11], v[19:20], v[2:3]
	v_fma_f64 v[2:3], v[10:11], v[19:20], -v[2:3]
	v_fma_f64 v[19:20], v[0:1], 0.5, v[6:7]
	v_fma_f64 v[0:1], v[0:1], 0.5, -v[6:7]
	v_fma_f64 v[6:7], -v[17:18], v[8:9], v[25:26]
	v_fma_f64 v[2:3], -v[17:18], v[8:9], v[2:3]
	v_fma_f64 v[8:9], v[10:11], v[17:18], v[19:20]
	v_fma_f64 v[0:1], -v[10:11], v[17:18], v[0:1]
	ds_write2_b64 v4, v[8:9], v[6:7] offset0:236 offset1:237
	ds_write_b128 v12, v[0:3] offset:23936
	ds_read_b128 v[0:3], v176 offset:8976
	ds_read_b128 v[6:9], v12 offset:20944
	v_add_nc_u32_e32 v4, 0x2000, v176
	s_waitcnt lgkmcnt(0)
	v_add_f64 v[10:11], v[0:1], -v[6:7]
	v_add_f64 v[17:18], v[2:3], v[8:9]
	v_add_f64 v[2:3], v[2:3], -v[8:9]
	v_add_f64 v[0:1], v[0:1], v[6:7]
	v_mul_f64 v[8:9], v[10:11], 0.5
	v_mul_f64 v[10:11], v[17:18], 0.5
	v_mul_f64 v[2:3], v[2:3], 0.5
	s_waitcnt vmcnt(1)
	v_mul_f64 v[6:7], v[8:9], v[23:24]
	v_fma_f64 v[17:18], v[10:11], v[23:24], v[2:3]
	v_fma_f64 v[2:3], v[10:11], v[23:24], -v[2:3]
	v_fma_f64 v[19:20], v[0:1], 0.5, v[6:7]
	v_fma_f64 v[0:1], v[0:1], 0.5, -v[6:7]
	v_fma_f64 v[6:7], -v[21:22], v[8:9], v[17:18]
	v_fma_f64 v[2:3], -v[21:22], v[8:9], v[2:3]
	v_fma_f64 v[8:9], v[10:11], v[21:22], v[19:20]
	v_fma_f64 v[0:1], -v[10:11], v[21:22], v[0:1]
	ds_write2_b64 v4, v[8:9], v[6:7] offset0:98 offset1:99
	ds_write_b128 v12, v[0:3] offset:20944
	ds_read_b128 v[0:3], v176 offset:11968
	ds_read_b128 v[6:9], v12 offset:17952
	v_add_nc_u32_e32 v4, 0x2800, v176
	s_waitcnt lgkmcnt(0)
	v_add_f64 v[10:11], v[0:1], -v[6:7]
	v_add_f64 v[17:18], v[2:3], v[8:9]
	v_add_f64 v[2:3], v[2:3], -v[8:9]
	v_add_f64 v[0:1], v[0:1], v[6:7]
	v_mul_f64 v[8:9], v[10:11], 0.5
	v_mul_f64 v[10:11], v[17:18], 0.5
	;; [unrolled: 1-line block ×3, first 2 shown]
	s_waitcnt vmcnt(0)
	v_mul_f64 v[6:7], v[8:9], v[15:16]
	v_fma_f64 v[17:18], v[10:11], v[15:16], v[2:3]
	v_fma_f64 v[2:3], v[10:11], v[15:16], -v[2:3]
	v_fma_f64 v[15:16], v[0:1], 0.5, v[6:7]
	v_fma_f64 v[0:1], v[0:1], 0.5, -v[6:7]
	v_fma_f64 v[6:7], -v[13:14], v[8:9], v[17:18]
	v_fma_f64 v[2:3], -v[13:14], v[8:9], v[2:3]
	v_fma_f64 v[8:9], v[10:11], v[13:14], v[15:16]
	v_fma_f64 v[0:1], -v[10:11], v[13:14], v[0:1]
	ds_write2_b64 v4, v[8:9], v[6:7] offset0:216 offset1:217
	ds_write_b128 v12, v[0:3] offset:17952
	s_waitcnt lgkmcnt(0)
	s_barrier
	buffer_gl0_inv
	s_and_saveexec_b32 s0, vcc_lo
	s_cbranch_execz .LBB0_26
; %bb.24:
	v_mul_lo_u32 v2, s3, v80
	v_mul_lo_u32 v3, s2, v81
	v_mad_u64_u32 v[0:1], null, s2, v80, 0
	v_lshl_add_u32 v28, v78, 4, 0
	v_mov_b32_e32 v79, v5
	ds_read_b128 v[6:9], v28
	ds_read_b128 v[10:13], v28 offset:2992
	v_add3_u32 v1, v1, v3, v2
	v_lshlrev_b64 v[2:3], 4, v[76:77]
	v_add_nc_u32_e32 v4, 0xbb, v78
	v_lshlrev_b64 v[14:15], 4, v[78:79]
	v_lshlrev_b64 v[0:1], 4, v[0:1]
	;; [unrolled: 1-line block ×3, first 2 shown]
	v_add_nc_u32_e32 v4, 0x176, v78
	v_add_co_u32 v0, vcc_lo, s10, v0
	v_add_co_ci_u32_e32 v1, vcc_lo, s11, v1, vcc_lo
	v_add_co_u32 v0, vcc_lo, v0, v2
	v_add_co_ci_u32_e32 v1, vcc_lo, v1, v3, vcc_lo
	;; [unrolled: 2-line block ×4, first 2 shown]
	v_lshlrev_b64 v[16:17], 4, v[4:5]
	v_add_nc_u32_e32 v4, 0x231, v78
	s_waitcnt lgkmcnt(1)
	global_store_dwordx4 v[2:3], v[6:9], off
	s_waitcnt lgkmcnt(0)
	global_store_dwordx4 v[14:15], v[10:13], off
	ds_read_b128 v[6:9], v28 offset:5984
	ds_read_b128 v[10:13], v28 offset:8976
	v_lshlrev_b64 v[2:3], 4, v[4:5]
	v_add_nc_u32_e32 v4, 0x2ec, v78
	v_add_co_u32 v22, vcc_lo, v0, v16
	v_add_co_ci_u32_e32 v23, vcc_lo, v1, v17, vcc_lo
	ds_read_b128 v[14:17], v28 offset:11968
	ds_read_b128 v[18:21], v28 offset:14960
	v_lshlrev_b64 v[24:25], 4, v[4:5]
	v_add_nc_u32_e32 v4, 0x3a7, v78
	v_add_co_u32 v2, vcc_lo, v0, v2
	v_add_co_ci_u32_e32 v3, vcc_lo, v1, v3, vcc_lo
	v_lshlrev_b64 v[26:27], 4, v[4:5]
	v_add_nc_u32_e32 v4, 0x462, v78
	v_add_co_u32 v24, vcc_lo, v0, v24
	s_waitcnt lgkmcnt(3)
	global_store_dwordx4 v[22:23], v[6:9], off
	v_add_co_ci_u32_e32 v25, vcc_lo, v1, v25, vcc_lo
	v_lshlrev_b64 v[6:7], 4, v[4:5]
	v_add_nc_u32_e32 v4, 0x51d, v78
	v_add_co_u32 v26, vcc_lo, v0, v26
	v_add_co_ci_u32_e32 v27, vcc_lo, v1, v27, vcc_lo
	v_lshlrev_b64 v[22:23], 4, v[4:5]
	v_add_nc_u32_e32 v4, 0x5d8, v78
	s_waitcnt lgkmcnt(2)
	global_store_dwordx4 v[2:3], v[10:13], off
	s_waitcnt lgkmcnt(1)
	global_store_dwordx4 v[24:25], v[14:17], off
	;; [unrolled: 2-line block ×3, first 2 shown]
	v_add_co_u32 v2, vcc_lo, v0, v6
	v_add_co_ci_u32_e32 v3, vcc_lo, v1, v7, vcc_lo
	ds_read_b128 v[6:9], v28 offset:17952
	ds_read_b128 v[10:13], v28 offset:20944
	;; [unrolled: 1-line block ×4, first 2 shown]
	v_lshlrev_b64 v[24:25], 4, v[4:5]
	v_add_nc_u32_e32 v4, 0x693, v78
	v_add_co_u32 v22, vcc_lo, v0, v22
	v_add_co_ci_u32_e32 v23, vcc_lo, v1, v23, vcc_lo
	v_lshlrev_b64 v[4:5], 4, v[4:5]
	v_add_co_u32 v24, vcc_lo, v0, v24
	v_add_co_ci_u32_e32 v25, vcc_lo, v1, v25, vcc_lo
	v_add_co_u32 v4, vcc_lo, v0, v4
	v_add_co_ci_u32_e32 v5, vcc_lo, v1, v5, vcc_lo
	v_cmp_eq_u32_e32 vcc_lo, 0xba, v78
	s_waitcnt lgkmcnt(3)
	global_store_dwordx4 v[2:3], v[6:9], off
	s_waitcnt lgkmcnt(2)
	global_store_dwordx4 v[22:23], v[10:13], off
	;; [unrolled: 2-line block ×4, first 2 shown]
	s_and_b32 exec_lo, exec_lo, vcc_lo
	s_cbranch_execz .LBB0_26
; %bb.25:
	v_mov_b32_e32 v2, 0
	v_add_co_u32 v0, vcc_lo, 0x7000, v0
	v_add_co_ci_u32_e32 v1, vcc_lo, 0, v1, vcc_lo
	ds_read_b128 v[2:5], v2 offset:29920
	s_waitcnt lgkmcnt(0)
	global_store_dwordx4 v[0:1], v[2:5], off offset:1248
.LBB0_26:
	s_endpgm
	.section	.rodata,"a",@progbits
	.p2align	6, 0x0
	.amdhsa_kernel fft_rtc_back_len1870_factors_17_10_11_wgs_187_tpt_187_halfLds_dp_op_CI_CI_unitstride_sbrr_R2C_dirReg
		.amdhsa_group_segment_fixed_size 0
		.amdhsa_private_segment_fixed_size 20
		.amdhsa_kernarg_size 104
		.amdhsa_user_sgpr_count 6
		.amdhsa_user_sgpr_private_segment_buffer 1
		.amdhsa_user_sgpr_dispatch_ptr 0
		.amdhsa_user_sgpr_queue_ptr 0
		.amdhsa_user_sgpr_kernarg_segment_ptr 1
		.amdhsa_user_sgpr_dispatch_id 0
		.amdhsa_user_sgpr_flat_scratch_init 0
		.amdhsa_user_sgpr_private_segment_size 0
		.amdhsa_wavefront_size32 1
		.amdhsa_uses_dynamic_stack 0
		.amdhsa_system_sgpr_private_segment_wavefront_offset 1
		.amdhsa_system_sgpr_workgroup_id_x 1
		.amdhsa_system_sgpr_workgroup_id_y 0
		.amdhsa_system_sgpr_workgroup_id_z 0
		.amdhsa_system_sgpr_workgroup_info 0
		.amdhsa_system_vgpr_workitem_id 0
		.amdhsa_next_free_vgpr 255
		.amdhsa_next_free_sgpr 60
		.amdhsa_reserve_vcc 1
		.amdhsa_reserve_flat_scratch 0
		.amdhsa_float_round_mode_32 0
		.amdhsa_float_round_mode_16_64 0
		.amdhsa_float_denorm_mode_32 3
		.amdhsa_float_denorm_mode_16_64 3
		.amdhsa_dx10_clamp 1
		.amdhsa_ieee_mode 1
		.amdhsa_fp16_overflow 0
		.amdhsa_workgroup_processor_mode 1
		.amdhsa_memory_ordered 1
		.amdhsa_forward_progress 0
		.amdhsa_shared_vgpr_count 0
		.amdhsa_exception_fp_ieee_invalid_op 0
		.amdhsa_exception_fp_denorm_src 0
		.amdhsa_exception_fp_ieee_div_zero 0
		.amdhsa_exception_fp_ieee_overflow 0
		.amdhsa_exception_fp_ieee_underflow 0
		.amdhsa_exception_fp_ieee_inexact 0
		.amdhsa_exception_int_div_zero 0
	.end_amdhsa_kernel
	.text
.Lfunc_end0:
	.size	fft_rtc_back_len1870_factors_17_10_11_wgs_187_tpt_187_halfLds_dp_op_CI_CI_unitstride_sbrr_R2C_dirReg, .Lfunc_end0-fft_rtc_back_len1870_factors_17_10_11_wgs_187_tpt_187_halfLds_dp_op_CI_CI_unitstride_sbrr_R2C_dirReg
                                        ; -- End function
	.section	.AMDGPU.csdata,"",@progbits
; Kernel info:
; codeLenInByte = 15420
; NumSgprs: 62
; NumVgprs: 255
; ScratchSize: 20
; MemoryBound: 0
; FloatMode: 240
; IeeeMode: 1
; LDSByteSize: 0 bytes/workgroup (compile time only)
; SGPRBlocks: 7
; VGPRBlocks: 31
; NumSGPRsForWavesPerEU: 62
; NumVGPRsForWavesPerEU: 255
; Occupancy: 4
; WaveLimiterHint : 1
; COMPUTE_PGM_RSRC2:SCRATCH_EN: 1
; COMPUTE_PGM_RSRC2:USER_SGPR: 6
; COMPUTE_PGM_RSRC2:TRAP_HANDLER: 0
; COMPUTE_PGM_RSRC2:TGID_X_EN: 1
; COMPUTE_PGM_RSRC2:TGID_Y_EN: 0
; COMPUTE_PGM_RSRC2:TGID_Z_EN: 0
; COMPUTE_PGM_RSRC2:TIDIG_COMP_CNT: 0
	.text
	.p2alignl 6, 3214868480
	.fill 48, 4, 3214868480
	.type	__hip_cuid_7682317b5e086512,@object ; @__hip_cuid_7682317b5e086512
	.section	.bss,"aw",@nobits
	.globl	__hip_cuid_7682317b5e086512
__hip_cuid_7682317b5e086512:
	.byte	0                               ; 0x0
	.size	__hip_cuid_7682317b5e086512, 1

	.ident	"AMD clang version 19.0.0git (https://github.com/RadeonOpenCompute/llvm-project roc-6.4.0 25133 c7fe45cf4b819c5991fe208aaa96edf142730f1d)"
	.section	".note.GNU-stack","",@progbits
	.addrsig
	.addrsig_sym __hip_cuid_7682317b5e086512
	.amdgpu_metadata
---
amdhsa.kernels:
  - .args:
      - .actual_access:  read_only
        .address_space:  global
        .offset:         0
        .size:           8
        .value_kind:     global_buffer
      - .offset:         8
        .size:           8
        .value_kind:     by_value
      - .actual_access:  read_only
        .address_space:  global
        .offset:         16
        .size:           8
        .value_kind:     global_buffer
      - .actual_access:  read_only
        .address_space:  global
        .offset:         24
        .size:           8
        .value_kind:     global_buffer
      - .actual_access:  read_only
        .address_space:  global
        .offset:         32
        .size:           8
        .value_kind:     global_buffer
      - .offset:         40
        .size:           8
        .value_kind:     by_value
      - .actual_access:  read_only
        .address_space:  global
        .offset:         48
        .size:           8
        .value_kind:     global_buffer
      - .actual_access:  read_only
        .address_space:  global
        .offset:         56
        .size:           8
        .value_kind:     global_buffer
      - .offset:         64
        .size:           4
        .value_kind:     by_value
      - .actual_access:  read_only
        .address_space:  global
        .offset:         72
        .size:           8
        .value_kind:     global_buffer
      - .actual_access:  read_only
        .address_space:  global
        .offset:         80
        .size:           8
        .value_kind:     global_buffer
      - .actual_access:  read_only
        .address_space:  global
        .offset:         88
        .size:           8
        .value_kind:     global_buffer
      - .actual_access:  write_only
        .address_space:  global
        .offset:         96
        .size:           8
        .value_kind:     global_buffer
    .group_segment_fixed_size: 0
    .kernarg_segment_align: 8
    .kernarg_segment_size: 104
    .language:       OpenCL C
    .language_version:
      - 2
      - 0
    .max_flat_workgroup_size: 187
    .name:           fft_rtc_back_len1870_factors_17_10_11_wgs_187_tpt_187_halfLds_dp_op_CI_CI_unitstride_sbrr_R2C_dirReg
    .private_segment_fixed_size: 20
    .sgpr_count:     62
    .sgpr_spill_count: 0
    .symbol:         fft_rtc_back_len1870_factors_17_10_11_wgs_187_tpt_187_halfLds_dp_op_CI_CI_unitstride_sbrr_R2C_dirReg.kd
    .uniform_work_group_size: 1
    .uses_dynamic_stack: false
    .vgpr_count:     255
    .vgpr_spill_count: 4
    .wavefront_size: 32
    .workgroup_processor_mode: 1
amdhsa.target:   amdgcn-amd-amdhsa--gfx1030
amdhsa.version:
  - 1
  - 2
...

	.end_amdgpu_metadata
